;; amdgpu-corpus repo=ROCm/rocFFT kind=compiled arch=gfx1030 opt=O3
	.text
	.amdgcn_target "amdgcn-amd-amdhsa--gfx1030"
	.amdhsa_code_object_version 6
	.protected	fft_rtc_fwd_len1638_factors_13_2_3_7_3_wgs_182_tpt_182_halfLds_half_op_CI_CI_unitstride_sbrr_R2C_dirReg ; -- Begin function fft_rtc_fwd_len1638_factors_13_2_3_7_3_wgs_182_tpt_182_halfLds_half_op_CI_CI_unitstride_sbrr_R2C_dirReg
	.globl	fft_rtc_fwd_len1638_factors_13_2_3_7_3_wgs_182_tpt_182_halfLds_half_op_CI_CI_unitstride_sbrr_R2C_dirReg
	.p2align	8
	.type	fft_rtc_fwd_len1638_factors_13_2_3_7_3_wgs_182_tpt_182_halfLds_half_op_CI_CI_unitstride_sbrr_R2C_dirReg,@function
fft_rtc_fwd_len1638_factors_13_2_3_7_3_wgs_182_tpt_182_halfLds_half_op_CI_CI_unitstride_sbrr_R2C_dirReg: ; @fft_rtc_fwd_len1638_factors_13_2_3_7_3_wgs_182_tpt_182_halfLds_half_op_CI_CI_unitstride_sbrr_R2C_dirReg
; %bb.0:
	s_clause 0x2
	s_load_dwordx4 s[12:15], s[4:5], 0x0
	s_load_dwordx4 s[8:11], s[4:5], 0x58
	;; [unrolled: 1-line block ×3, first 2 shown]
	v_mul_u32_u24_e32 v1, 0x169, v0
	v_mov_b32_e32 v3, 0
	v_mov_b32_e32 v7, 0
	;; [unrolled: 1-line block ×3, first 2 shown]
	v_add_nc_u32_sdwa v9, s6, v1 dst_sel:DWORD dst_unused:UNUSED_PAD src0_sel:DWORD src1_sel:WORD_1
	v_mov_b32_e32 v10, v3
	s_waitcnt lgkmcnt(0)
	v_cmp_lt_u64_e64 s0, s[14:15], 2
	s_and_b32 vcc_lo, exec_lo, s0
	s_cbranch_vccnz .LBB0_8
; %bb.1:
	s_load_dwordx2 s[0:1], s[4:5], 0x10
	v_mov_b32_e32 v7, 0
	v_mov_b32_e32 v8, 0
	s_add_u32 s2, s18, 8
	s_addc_u32 s3, s19, 0
	v_mov_b32_e32 v1, v7
	s_add_u32 s6, s16, 8
	v_mov_b32_e32 v2, v8
	s_addc_u32 s7, s17, 0
	s_mov_b64 s[22:23], 1
	s_waitcnt lgkmcnt(0)
	s_add_u32 s20, s0, 8
	s_addc_u32 s21, s1, 0
.LBB0_2:                                ; =>This Inner Loop Header: Depth=1
	s_load_dwordx2 s[24:25], s[20:21], 0x0
                                        ; implicit-def: $vgpr5_vgpr6
	s_mov_b32 s0, exec_lo
	s_waitcnt lgkmcnt(0)
	v_or_b32_e32 v4, s25, v10
	v_cmpx_ne_u64_e32 0, v[3:4]
	s_xor_b32 s1, exec_lo, s0
	s_cbranch_execz .LBB0_4
; %bb.3:                                ;   in Loop: Header=BB0_2 Depth=1
	v_cvt_f32_u32_e32 v4, s24
	v_cvt_f32_u32_e32 v5, s25
	s_sub_u32 s0, 0, s24
	s_subb_u32 s26, 0, s25
	v_fmac_f32_e32 v4, 0x4f800000, v5
	v_rcp_f32_e32 v4, v4
	v_mul_f32_e32 v4, 0x5f7ffffc, v4
	v_mul_f32_e32 v5, 0x2f800000, v4
	v_trunc_f32_e32 v5, v5
	v_fmac_f32_e32 v4, 0xcf800000, v5
	v_cvt_u32_f32_e32 v5, v5
	v_cvt_u32_f32_e32 v4, v4
	v_mul_lo_u32 v6, s0, v5
	v_mul_hi_u32 v11, s0, v4
	v_mul_lo_u32 v12, s26, v4
	v_add_nc_u32_e32 v6, v11, v6
	v_mul_lo_u32 v11, s0, v4
	v_add_nc_u32_e32 v6, v6, v12
	v_mul_hi_u32 v12, v4, v11
	v_mul_lo_u32 v13, v4, v6
	v_mul_hi_u32 v14, v4, v6
	v_mul_hi_u32 v15, v5, v11
	v_mul_lo_u32 v11, v5, v11
	v_mul_hi_u32 v16, v5, v6
	v_mul_lo_u32 v6, v5, v6
	v_add_co_u32 v12, vcc_lo, v12, v13
	v_add_co_ci_u32_e32 v13, vcc_lo, 0, v14, vcc_lo
	v_add_co_u32 v11, vcc_lo, v12, v11
	v_add_co_ci_u32_e32 v11, vcc_lo, v13, v15, vcc_lo
	v_add_co_ci_u32_e32 v12, vcc_lo, 0, v16, vcc_lo
	v_add_co_u32 v6, vcc_lo, v11, v6
	v_add_co_ci_u32_e32 v11, vcc_lo, 0, v12, vcc_lo
	v_add_co_u32 v4, vcc_lo, v4, v6
	v_add_co_ci_u32_e32 v5, vcc_lo, v5, v11, vcc_lo
	v_mul_hi_u32 v6, s0, v4
	v_mul_lo_u32 v12, s26, v4
	v_mul_lo_u32 v11, s0, v5
	v_add_nc_u32_e32 v6, v6, v11
	v_mul_lo_u32 v11, s0, v4
	v_add_nc_u32_e32 v6, v6, v12
	v_mul_hi_u32 v12, v4, v11
	v_mul_lo_u32 v13, v4, v6
	v_mul_hi_u32 v14, v4, v6
	v_mul_hi_u32 v15, v5, v11
	v_mul_lo_u32 v11, v5, v11
	v_mul_hi_u32 v16, v5, v6
	v_mul_lo_u32 v6, v5, v6
	v_add_co_u32 v12, vcc_lo, v12, v13
	v_add_co_ci_u32_e32 v13, vcc_lo, 0, v14, vcc_lo
	v_add_co_u32 v11, vcc_lo, v12, v11
	v_add_co_ci_u32_e32 v11, vcc_lo, v13, v15, vcc_lo
	v_add_co_ci_u32_e32 v12, vcc_lo, 0, v16, vcc_lo
	v_add_co_u32 v6, vcc_lo, v11, v6
	v_add_co_ci_u32_e32 v11, vcc_lo, 0, v12, vcc_lo
	v_add_co_u32 v6, vcc_lo, v4, v6
	v_add_co_ci_u32_e32 v13, vcc_lo, v5, v11, vcc_lo
	v_mul_hi_u32 v15, v9, v6
	v_mad_u64_u32 v[11:12], null, v10, v6, 0
	v_mad_u64_u32 v[4:5], null, v9, v13, 0
	;; [unrolled: 1-line block ×3, first 2 shown]
	v_add_co_u32 v4, vcc_lo, v15, v4
	v_add_co_ci_u32_e32 v5, vcc_lo, 0, v5, vcc_lo
	v_add_co_u32 v4, vcc_lo, v4, v11
	v_add_co_ci_u32_e32 v4, vcc_lo, v5, v12, vcc_lo
	v_add_co_ci_u32_e32 v5, vcc_lo, 0, v14, vcc_lo
	v_add_co_u32 v11, vcc_lo, v4, v13
	v_add_co_ci_u32_e32 v6, vcc_lo, 0, v5, vcc_lo
	v_mul_lo_u32 v12, s25, v11
	v_mad_u64_u32 v[4:5], null, s24, v11, 0
	v_mul_lo_u32 v13, s24, v6
	v_sub_co_u32 v4, vcc_lo, v9, v4
	v_add3_u32 v5, v5, v13, v12
	v_sub_nc_u32_e32 v12, v10, v5
	v_subrev_co_ci_u32_e64 v12, s0, s25, v12, vcc_lo
	v_add_co_u32 v13, s0, v11, 2
	v_add_co_ci_u32_e64 v14, s0, 0, v6, s0
	v_sub_co_u32 v15, s0, v4, s24
	v_sub_co_ci_u32_e32 v5, vcc_lo, v10, v5, vcc_lo
	v_subrev_co_ci_u32_e64 v12, s0, 0, v12, s0
	v_cmp_le_u32_e32 vcc_lo, s24, v15
	v_cmp_eq_u32_e64 s0, s25, v5
	v_cndmask_b32_e64 v15, 0, -1, vcc_lo
	v_cmp_le_u32_e32 vcc_lo, s25, v12
	v_cndmask_b32_e64 v16, 0, -1, vcc_lo
	v_cmp_le_u32_e32 vcc_lo, s24, v4
	;; [unrolled: 2-line block ×3, first 2 shown]
	v_cndmask_b32_e64 v17, 0, -1, vcc_lo
	v_cmp_eq_u32_e32 vcc_lo, s25, v12
	v_cndmask_b32_e64 v4, v17, v4, s0
	v_cndmask_b32_e32 v12, v16, v15, vcc_lo
	v_add_co_u32 v15, vcc_lo, v11, 1
	v_add_co_ci_u32_e32 v16, vcc_lo, 0, v6, vcc_lo
	v_cmp_ne_u32_e32 vcc_lo, 0, v12
	v_cndmask_b32_e32 v5, v16, v14, vcc_lo
	v_cndmask_b32_e32 v12, v15, v13, vcc_lo
	v_cmp_ne_u32_e32 vcc_lo, 0, v4
	v_cndmask_b32_e32 v6, v6, v5, vcc_lo
	v_cndmask_b32_e32 v5, v11, v12, vcc_lo
.LBB0_4:                                ;   in Loop: Header=BB0_2 Depth=1
	s_andn2_saveexec_b32 s0, s1
	s_cbranch_execz .LBB0_6
; %bb.5:                                ;   in Loop: Header=BB0_2 Depth=1
	v_cvt_f32_u32_e32 v4, s24
	s_sub_i32 s1, 0, s24
	v_rcp_iflag_f32_e32 v4, v4
	v_mul_f32_e32 v4, 0x4f7ffffe, v4
	v_cvt_u32_f32_e32 v4, v4
	v_mul_lo_u32 v5, s1, v4
	v_mul_hi_u32 v5, v4, v5
	v_add_nc_u32_e32 v4, v4, v5
	v_mul_hi_u32 v4, v9, v4
	v_mul_lo_u32 v5, v4, s24
	v_add_nc_u32_e32 v6, 1, v4
	v_sub_nc_u32_e32 v5, v9, v5
	v_subrev_nc_u32_e32 v11, s24, v5
	v_cmp_le_u32_e32 vcc_lo, s24, v5
	v_cndmask_b32_e32 v5, v5, v11, vcc_lo
	v_cndmask_b32_e32 v4, v4, v6, vcc_lo
	v_cmp_le_u32_e32 vcc_lo, s24, v5
	v_add_nc_u32_e32 v6, 1, v4
	v_cndmask_b32_e32 v5, v4, v6, vcc_lo
	v_mov_b32_e32 v6, v3
.LBB0_6:                                ;   in Loop: Header=BB0_2 Depth=1
	s_or_b32 exec_lo, exec_lo, s0
	v_mul_lo_u32 v4, v6, s24
	v_mul_lo_u32 v13, v5, s25
	s_load_dwordx2 s[0:1], s[6:7], 0x0
	v_mad_u64_u32 v[11:12], null, v5, s24, 0
	s_load_dwordx2 s[24:25], s[2:3], 0x0
	s_add_u32 s22, s22, 1
	s_addc_u32 s23, s23, 0
	s_add_u32 s2, s2, 8
	s_addc_u32 s3, s3, 0
	s_add_u32 s6, s6, 8
	v_add3_u32 v4, v12, v13, v4
	v_sub_co_u32 v9, vcc_lo, v9, v11
	s_addc_u32 s7, s7, 0
	s_add_u32 s20, s20, 8
	v_sub_co_ci_u32_e32 v4, vcc_lo, v10, v4, vcc_lo
	s_addc_u32 s21, s21, 0
	s_waitcnt lgkmcnt(0)
	v_mul_lo_u32 v10, s0, v4
	v_mul_lo_u32 v11, s1, v9
	v_mad_u64_u32 v[7:8], null, s0, v9, v[7:8]
	v_mul_lo_u32 v4, s24, v4
	v_mul_lo_u32 v12, s25, v9
	v_mad_u64_u32 v[1:2], null, s24, v9, v[1:2]
	v_cmp_ge_u64_e64 s0, s[22:23], s[14:15]
	v_add3_u32 v8, v11, v8, v10
	v_add3_u32 v2, v12, v2, v4
	s_and_b32 vcc_lo, exec_lo, s0
	s_cbranch_vccnz .LBB0_9
; %bb.7:                                ;   in Loop: Header=BB0_2 Depth=1
	v_mov_b32_e32 v10, v6
	v_mov_b32_e32 v9, v5
	s_branch .LBB0_2
.LBB0_8:
	v_mov_b32_e32 v1, v7
	v_mov_b32_e32 v5, v9
	;; [unrolled: 1-line block ×4, first 2 shown]
.LBB0_9:
	s_load_dwordx2 s[0:1], s[4:5], 0x28
	v_mul_hi_u32 v4, 0x1681682, v0
	s_lshl_b64 s[4:5], s[14:15], 3
                                        ; implicit-def: $vgpr3
	s_add_u32 s2, s18, s4
	s_addc_u32 s3, s19, s5
	s_waitcnt lgkmcnt(0)
	v_cmp_gt_u64_e32 vcc_lo, s[0:1], v[5:6]
	v_cmp_le_u64_e64 s0, s[0:1], v[5:6]
	s_and_saveexec_b32 s1, s0
	s_xor_b32 s0, exec_lo, s1
; %bb.10:
	v_mul_u32_u24_e32 v3, 0xb6, v4
                                        ; implicit-def: $vgpr4
                                        ; implicit-def: $vgpr7_vgpr8
	v_sub_nc_u32_e32 v3, v0, v3
                                        ; implicit-def: $vgpr0
; %bb.11:
	s_andn2_saveexec_b32 s1, s0
	s_cbranch_execz .LBB0_13
; %bb.12:
	s_add_u32 s4, s16, s4
	s_addc_u32 s5, s17, s5
	v_lshlrev_b64 v[7:8], 2, v[7:8]
	s_load_dwordx2 s[4:5], s[4:5], 0x0
	s_waitcnt lgkmcnt(0)
	v_mul_lo_u32 v3, s5, v5
	v_mul_lo_u32 v11, s4, v6
	v_mad_u64_u32 v[9:10], null, s4, v5, 0
	v_add3_u32 v10, v10, v11, v3
	v_mul_u32_u24_e32 v3, 0xb6, v4
	v_lshlrev_b64 v[9:10], 2, v[9:10]
	v_sub_nc_u32_e32 v3, v0, v3
	v_lshlrev_b32_e32 v13, 2, v3
	v_add_co_u32 v0, s0, s8, v9
	v_add_co_ci_u32_e64 v4, s0, s9, v10, s0
	v_add_co_u32 v0, s0, v0, v7
	v_add_co_ci_u32_e64 v4, s0, v4, v8, s0
	;; [unrolled: 2-line block ×5, first 2 shown]
	s_clause 0x8
	global_load_dword v0, v[7:8], off
	global_load_dword v4, v[7:8], off offset:728
	global_load_dword v7, v[7:8], off offset:1456
	global_load_dword v8, v[9:10], off offset:136
	global_load_dword v14, v[9:10], off offset:864
	global_load_dword v9, v[9:10], off offset:1592
	global_load_dword v10, v[11:12], off offset:272
	global_load_dword v15, v[11:12], off offset:1000
	global_load_dword v11, v[11:12], off offset:1728
	v_add_nc_u32_e32 v12, 0, v13
	v_add_nc_u32_e32 v13, 0x500, v12
	;; [unrolled: 1-line block ×4, first 2 shown]
	s_waitcnt vmcnt(7)
	ds_write2_b32 v12, v0, v4 offset1:182
	s_waitcnt vmcnt(5)
	ds_write2_b32 v13, v7, v8 offset0:44 offset1:226
	s_waitcnt vmcnt(3)
	ds_write2_b32 v16, v14, v9 offset0:24 offset1:206
	s_waitcnt vmcnt(1)
	ds_write2_b32 v17, v10, v15 offset0:68 offset1:250
	s_waitcnt vmcnt(0)
	ds_write_b32 v12, v11 offset:5824
.LBB0_13:
	s_or_b32 exec_lo, exec_lo, s1
	v_lshl_add_u32 v0, v3, 2, 0
	s_waitcnt lgkmcnt(0)
	s_barrier
	buffer_gl0_inv
	v_mov_b32_e32 v7, 0xbbf1
	ds_read_b32 v25, v0 offset:6048
	ds_read2_b32 v[11:12], v0 offset1:126
	v_add_nc_u32_e32 v4, 0x200, v0
	v_add_nc_u32_e32 v9, 0x1200, v0
	v_mov_b32_e32 v8, 0xba95
	v_mov_b32_e32 v10, 0xbb7b
	ds_read2_b32 v[15:16], v4 offset0:124 offset1:250
	ds_read2_b32 v[13:14], v9 offset0:108 offset1:234
	v_mov_b32_e32 v4, 0xb770
	v_mov_b32_e32 v34, 0xb3a8
	;; [unrolled: 1-line block ×4, first 2 shown]
	v_add_nc_u32_e32 v38, 0xe00, v0
	v_mov_b32_e32 v40, 0x3b7b
	v_mov_b32_e32 v60, 0x3770
	;; [unrolled: 1-line block ×3, first 2 shown]
	s_mov_b32 s1, exec_lo
	s_waitcnt lgkmcnt(2)
	v_pk_add_f16 v27, v12, v25 neg_lo:[0,1] neg_hi:[0,1]
	v_pk_add_f16 v26, v25, v12
	v_mul_f16_sdwa v31, v27, v4 dst_sel:DWORD dst_unused:UNUSED_PAD src0_sel:WORD_1 src1_sel:DWORD
	v_lshrrev_b32_e32 v53, 16, v26
	v_mul_f16_e32 v39, 0xba95, v27
	s_waitcnt lgkmcnt(0)
	v_pk_add_f16 v28, v14, v15
	v_pk_add_f16 v29, v15, v14 neg_lo:[0,1] neg_hi:[0,1]
	v_mul_f16_sdwa v41, v27, v7 dst_sel:DWORD dst_unused:UNUSED_PAD src0_sel:WORD_1 src1_sel:DWORD
	v_fmamk_f16 v4, v26, 0x3b15, v31
	v_fma_f16 v17, v53, 0x388b, -v39
	v_lshrrev_b32_e32 v57, 16, v28
	v_mul_f16_sdwa v33, v29, v8 dst_sel:DWORD dst_unused:UNUSED_PAD src0_sel:WORD_1 src1_sel:DWORD
	v_mul_f16_e32 v42, 0xbb7b, v29
	v_mul_f16_sdwa v48, v27, v10 dst_sel:DWORD dst_unused:UNUSED_PAD src0_sel:WORD_1 src1_sel:DWORD
	v_fmamk_f16 v18, v26, 0x2fb7, v41
	v_add_f16_e32 v4, v11, v4
	v_add_f16_sdwa v17, v11, v17 dst_sel:DWORD dst_unused:UNUSED_PAD src0_sel:WORD_1 src1_sel:DWORD
	v_fmamk_f16 v30, v28, 0x388b, v33
	v_fma_f16 v32, v57, 0xb5ac, -v42
	v_mul_f16_sdwa v46, v29, v34 dst_sel:DWORD dst_unused:UNUSED_PAD src0_sel:WORD_1 src1_sel:DWORD
	v_mul_f16_e32 v51, 0xbb7b, v27
	v_mul_f16_sdwa v59, v27, v24 dst_sel:DWORD dst_unused:UNUSED_PAD src0_sel:WORD_1 src1_sel:DWORD
	v_fmamk_f16 v20, v26, 0xb5ac, v48
	v_add_f16_e32 v18, v11, v18
	v_add_f16_e32 v4, v30, v4
	;; [unrolled: 1-line block ×3, first 2 shown]
	v_fmamk_f16 v17, v28, 0xbbc4, v46
	v_mul_f16_sdwa v52, v29, v35 dst_sel:DWORD dst_unused:UNUSED_PAD src0_sel:WORD_1 src1_sel:DWORD
	v_mov_b32_e32 v30, 0x3bf1
	v_mul_f16_e32 v43, 0xbbf1, v27
	v_mul_f16_e32 v64, 0xb94e, v27
	v_fma_f16 v21, v53, 0xb5ac, -v51
	v_fmamk_f16 v22, v26, 0xb9fd, v59
	v_add_f16_e32 v20, v11, v20
	v_mul_f16_e32 v63, 0x394e, v29
	v_add_f16_e32 v35, v17, v18
	v_fmamk_f16 v17, v28, 0xb9fd, v52
	v_mul_f16_sdwa v67, v29, v30 dst_sel:DWORD dst_unused:UNUSED_PAD src0_sel:WORD_1 src1_sel:DWORD
	v_fma_f16 v19, v53, 0x2fb7, -v43
	v_add_f16_sdwa v21, v11, v21 dst_sel:DWORD dst_unused:UNUSED_PAD src0_sel:WORD_1 src1_sel:DWORD
	v_fma_f16 v23, v53, 0xb9fd, -v64
	v_add_f16_e32 v22, v11, v22
	v_mul_f16_e32 v49, 0xb3a8, v29
	v_fma_f16 v18, v57, 0xb9fd, -v63
	v_mul_f16_e32 v72, 0x3bf1, v29
	v_add_f16_e32 v44, v17, v20
	v_fmamk_f16 v17, v28, 0x2fb7, v67
	v_add_f16_sdwa v19, v11, v19 dst_sel:DWORD dst_unused:UNUSED_PAD src0_sel:WORD_1 src1_sel:DWORD
	v_add_f16_sdwa v23, v11, v23 dst_sel:DWORD dst_unused:UNUSED_PAD src0_sel:WORD_1 src1_sel:DWORD
	v_fma_f16 v32, v57, 0xbbc4, -v49
	v_add_f16_e32 v21, v18, v21
	v_fma_f16 v18, v57, 0x2fb7, -v72
	v_add_f16_e32 v22, v17, v22
	v_add_nc_u32_e32 v17, 0x600, v0
	v_add_f16_e32 v37, v32, v19
	v_pk_add_f16 v32, v16, v13 neg_lo:[0,1] neg_hi:[0,1]
	v_add_f16_e32 v23, v18, v23
	ds_read2_b32 v[19:20], v17 offset0:120 offset1:246
	ds_read2_b32 v[17:18], v38 offset0:112 offset1:238
	v_pk_add_f16 v30, v13, v16
	v_mul_f16_sdwa v47, v32, v7 dst_sel:DWORD dst_unused:UNUSED_PAD src0_sel:WORD_1 src1_sel:DWORD
	v_mul_f16_e32 v55, 0xb3a8, v32
	v_mul_f16_sdwa v58, v32, v40 dst_sel:DWORD dst_unused:UNUSED_PAD src0_sel:WORD_1 src1_sel:DWORD
	v_mul_f16_e32 v62, 0x3b7b, v32
	v_lshrrev_b32_e32 v71, 16, v30
	v_fmamk_f16 v38, v30, 0x2fb7, v47
	v_mul_f16_sdwa v69, v32, v60 dst_sel:DWORD dst_unused:UNUSED_PAD src0_sel:WORD_1 src1_sel:DWORD
	v_mul_f16_e32 v82, 0x3770, v32
	v_mul_f16_sdwa v85, v32, v8 dst_sel:DWORD dst_unused:UNUSED_PAD src0_sel:WORD_1 src1_sel:DWORD
	v_fma_f16 v40, v71, 0xbbc4, -v55
	v_add_f16_e32 v4, v38, v4
	v_fmamk_f16 v38, v30, 0xb5ac, v58
	v_fma_f16 v45, v71, 0xb5ac, -v62
	v_fma_f16 v56, v71, 0x3b15, -v82
	v_add_f16_e32 v36, v40, v36
	v_mul_f16_e32 v96, 0xba95, v32
	v_add_f16_e32 v35, v38, v35
	v_add_f16_e32 v37, v45, v37
	v_fmamk_f16 v45, v30, 0x3b15, v69
	s_waitcnt lgkmcnt(0)
	v_pk_add_f16 v40, v19, v18 neg_lo:[0,1] neg_hi:[0,1]
	v_pk_add_f16 v38, v18, v19
	v_fma_f16 v61, v71, 0x388b, -v96
	v_add_f16_e32 v21, v56, v21
	v_add_f16_e32 v44, v45, v44
	v_fmamk_f16 v45, v30, 0x388b, v85
	v_mul_f16_sdwa v50, v40, v10 dst_sel:DWORD dst_unused:UNUSED_PAD src0_sel:WORD_1 src1_sel:DWORD
	v_lshrrev_b32_e32 v80, 16, v38
	v_mul_f16_e32 v54, 0x394e, v40
	v_mul_f16_sdwa v66, v40, v60 dst_sel:DWORD dst_unused:UNUSED_PAD src0_sel:WORD_1 src1_sel:DWORD
	v_add_f16_e32 v22, v45, v22
	v_fmamk_f16 v45, v38, 0xb5ac, v50
	v_mul_f16_e32 v68, 0x3770, v40
	v_fma_f16 v56, v80, 0xb9fd, -v54
	v_mul_f16_sdwa v74, v40, v7 dst_sel:DWORD dst_unused:UNUSED_PAD src0_sel:WORD_1 src1_sel:DWORD
	v_add_f16_e32 v23, v61, v23
	v_add_f16_e32 v4, v45, v4
	v_fma_f16 v45, v80, 0x3b15, -v68
	v_add_f16_e32 v7, v56, v36
	v_fmamk_f16 v36, v38, 0x3b15, v66
	v_fmamk_f16 v56, v38, 0x2fb7, v74
	v_mul_f16_e32 v87, 0xbbf1, v40
	v_mov_b32_e32 v61, 0x33a8
	v_mul_f16_e32 v99, 0x33a8, v40
	v_add_f16_e32 v35, v36, v35
	v_add_f16_e32 v36, v45, v37
	;; [unrolled: 1-line block ×3, first 2 shown]
	v_fma_f16 v56, v80, 0x2fb7, -v87
	v_mul_f16_sdwa v92, v40, v61 dst_sel:DWORD dst_unused:UNUSED_PAD src0_sel:WORD_1 src1_sel:DWORD
	v_pk_add_f16 v45, v20, v17 neg_lo:[0,1] neg_hi:[0,1]
	v_pk_add_f16 v44, v17, v20
	v_fma_f16 v70, v80, 0xbbc4, -v99
	v_add_f16_e32 v77, v56, v21
	v_fmamk_f16 v21, v38, 0xbbc4, v92
	v_mul_f16_e32 v65, 0x3bf1, v45
	v_lshrrev_b32_e32 v86, 16, v44
	v_add_f16_e32 v23, v70, v23
	v_mul_f16_sdwa v70, v45, v8 dst_sel:DWORD dst_unused:UNUSED_PAD src0_sel:WORD_1 src1_sel:DWORD
	v_add_f16_e32 v78, v21, v22
	v_add_nc_u32_e32 v21, 0xa00, v0
	v_fma_f16 v75, v86, 0x2fb7, -v65
	v_mul_f16_e32 v83, 0xba95, v45
	v_mul_f16_sdwa v88, v45, v61 dst_sel:DWORD dst_unused:UNUSED_PAD src0_sel:WORD_1 src1_sel:DWORD
	v_mul_f16_sdwa v102, v45, v60 dst_sel:DWORD dst_unused:UNUSED_PAD src0_sel:WORD_1 src1_sel:DWORD
	ds_read2_b32 v[21:22], v21 offset0:116 offset1:242
	v_add_f16_e32 v89, v75, v7
	v_fmamk_f16 v7, v44, 0x388b, v70
	v_fma_f16 v8, v86, 0x388b, -v83
	v_fmamk_f16 v61, v44, 0xbbc4, v88
	v_mul_f16_sdwa v56, v45, v24 dst_sel:DWORD dst_unused:UNUSED_PAD src0_sel:WORD_1 src1_sel:DWORD
	v_mul_f16_e32 v100, 0x33a8, v45
	v_add_f16_e32 v108, v7, v35
	v_add_f16_e32 v35, v8, v36
	;; [unrolled: 1-line block ×3, first 2 shown]
	v_fmamk_f16 v60, v44, 0x3b15, v102
	v_fmamk_f16 v73, v44, 0xb9fd, v56
	v_fma_f16 v8, v86, 0xbbc4, -v100
	v_mul_f16_e32 v105, 0x3770, v45
	v_pk_mul_f16 v90, 0x3b15388b, v26
	v_add_f16_e32 v109, v60, v78
	v_add_f16_e32 v4, v73, v4
	;; [unrolled: 1-line block ×3, first 2 shown]
	v_fma_f16 v8, v86, 0x3b15, -v105
	v_pk_mul_f16 v91, 0x388bb5ac, v28
	s_waitcnt lgkmcnt(0)
	v_pk_add_f16 v61, v21, v22 neg_lo:[0,1] neg_hi:[0,1]
	v_pk_add_f16 v60, v22, v21
	v_pk_fma_f16 v73, 0xba95b770, v27, v90 op_sel:[0,0,1] op_sel_hi:[1,1,0]
	v_add_f16_e32 v111, v8, v23
	v_pk_fma_f16 v75, 0xbb7bba95, v29, v91 op_sel:[0,0,1] op_sel_hi:[1,1,0]
	v_mul_f16_sdwa v79, v61, v34 dst_sel:DWORD dst_unused:UNUSED_PAD src0_sel:WORD_1 src1_sel:DWORD
	v_lshrrev_b32_e32 v101, 16, v60
	v_mul_f16_e32 v84, 0x3770, v61
	v_add_f16_sdwa v7, v11, v73 dst_sel:DWORD dst_unused:UNUSED_PAD src0_sel:DWORD src1_sel:WORD_1
	v_pk_mul_f16 v37, 0x2fb7bbc4, v30
	v_fmamk_f16 v94, v60, 0xbbc4, v79
	v_mul_f16_e32 v97, 0xb94e, v61
	v_fma_f16 v23, v101, 0x3b15, -v84
	v_mul_f16_sdwa v103, v61, v95 dst_sel:DWORD dst_unused:UNUSED_PAD src0_sel:WORD_1 src1_sel:DWORD
	v_pk_fma_f16 v95, 0xbb7bba95, v29, v91 op_sel:[0,0,1] op_sel_hi:[1,1,0] neg_lo:[0,1,0] neg_hi:[0,1,0]
	v_add_f16_e32 v8, v94, v4
	v_pk_fma_f16 v94, 0xba95b770, v27, v90 op_sel:[0,0,1] op_sel_hi:[1,1,0] neg_lo:[0,1,0] neg_hi:[0,1,0]
	v_add_f16_e32 v4, v23, v89
	v_add_f16_sdwa v7, v75, v7 dst_sel:DWORD dst_unused:UNUSED_PAD src0_sel:WORD_1 src1_sel:DWORD
	v_pk_fma_f16 v76, 0xb3a8bbf1, v32, v37 op_sel:[0,0,1] op_sel_hi:[1,1,0]
	v_pk_mul_f16 v93, 0xb5acb9fd, v38
	v_add_f16_sdwa v23, v11, v94 dst_sel:DWORD dst_unused:UNUSED_PAD src0_sel:WORD_1 src1_sel:DWORD
	v_mul_f16_e32 v104, 0x3a95, v61
	v_fma_f16 v89, v101, 0xb9fd, -v97
	v_fmamk_f16 v91, v60, 0x388b, v103
	v_pk_fma_f16 v90, 0xb3a8bbf1, v32, v37 op_sel:[0,0,1] op_sel_hi:[1,1,0] neg_lo:[0,1,0] neg_hi:[0,1,0]
	v_add_f16_e32 v37, v95, v23
	v_add_f16_sdwa v7, v76, v7 dst_sel:DWORD dst_unused:UNUSED_PAD src0_sel:WORD_1 src1_sel:DWORD
	v_pk_fma_f16 v78, 0x394ebb7b, v40, v93 op_sel:[0,0,1] op_sel_hi:[1,1,0]
	v_pk_mul_f16 v110, 0xb9fd2fb7, v44
	v_fma_f16 v106, v101, 0x388b, -v104
	v_add_f16_e32 v23, v89, v35
	v_add_f16_e32 v36, v91, v36
	v_pk_fma_f16 v91, 0x394ebb7b, v40, v93 op_sel:[0,0,1] op_sel_hi:[1,1,0] neg_lo:[0,1,0] neg_hi:[0,1,0]
	v_add_f16_e32 v35, v90, v37
	v_add_f16_sdwa v7, v78, v7 dst_sel:DWORD dst_unused:UNUSED_PAD src0_sel:WORD_1 src1_sel:DWORD
	v_pk_fma_f16 v81, 0x3bf1b94e, v45, v110 op_sel:[0,0,1] op_sel_hi:[1,1,0]
	v_pk_mul_f16 v34, 0xbbc43b15, v60
	v_add_f16_e32 v37, v106, v98
	v_mul_f16_sdwa v106, v61, v10 dst_sel:DWORD dst_unused:UNUSED_PAD src0_sel:WORD_1 src1_sel:DWORD
	v_mul_f16_e32 v107, 0xbb7b, v61
	v_pk_fma_f16 v93, 0x3bf1b94e, v45, v110 op_sel:[0,0,1] op_sel_hi:[1,1,0] neg_lo:[0,1,0] neg_hi:[0,1,0]
	v_add_f16_e32 v10, v91, v35
	v_mul_f16_sdwa v98, v61, v24 dst_sel:DWORD dst_unused:UNUSED_PAD src0_sel:WORD_1 src1_sel:DWORD
	v_add_f16_sdwa v7, v81, v7 dst_sel:DWORD dst_unused:UNUSED_PAD src0_sel:WORD_1 src1_sel:DWORD
	v_pk_fma_f16 v77, 0x3770b3a8, v61, v34 op_sel:[0,0,1] op_sel_hi:[1,1,0]
	v_fmamk_f16 v24, v60, 0xb5ac, v106
	v_fma_f16 v35, v101, 0xb5ac, -v107
	v_pk_fma_f16 v89, 0x3770b3a8, v61, v34 op_sel:[0,0,1] op_sel_hi:[1,1,0] neg_lo:[0,1,0] neg_hi:[0,1,0]
	v_add_f16_e32 v10, v93, v10
	v_fmamk_f16 v110, v60, 0xb9fd, v98
	v_add_f16_sdwa v7, v77, v7 dst_sel:DWORD dst_unused:UNUSED_PAD src0_sel:WORD_1 src1_sel:DWORD
	v_add_f16_e32 v34, v24, v109
	v_add_f16_e32 v35, v35, v111
	;; [unrolled: 1-line block ×4, first 2 shown]
	s_barrier
	buffer_gl0_inv
	v_cmpx_gt_u32_e32 0x7e, v3
	s_cbranch_execz .LBB0_15
; %bb.14:
	v_mul_f16_e32 v108, 0xb9fd, v53
	v_mul_f16_e32 v109, 0x2fb7, v57
	;; [unrolled: 1-line block ×3, first 2 shown]
	v_pk_add_f16 v12, v11, v12
	v_add_f16_e32 v64, v64, v108
	v_mul_f16_e32 v108, 0x388b, v71
	v_add_f16_e32 v72, v72, v109
	v_add_f16_e32 v99, v99, v110
	v_mul_f16_e32 v110, 0xb5ac, v101
	v_add_f16_sdwa v64, v11, v64 dst_sel:DWORD dst_unused:UNUSED_PAD src0_sel:WORD_1 src1_sel:DWORD
	v_add_f16_e32 v96, v96, v108
	v_mul_f16_e32 v108, 0x3b15, v86
	v_pk_add_f16 v12, v12, v15
	v_add_f16_e32 v107, v107, v110
	v_add_f16_e32 v64, v72, v64
	v_mul_f16_e32 v110, 0x2fb7, v28
	v_add_f16_e32 v105, v105, v108
	v_mul_f16_e32 v108, 0xb9fd, v26
	v_mul_f16_e32 v72, 0x3b15, v26
	v_add_f16_e32 v64, v96, v64
	v_mul_f16_e32 v96, 0x388b, v53
	v_sub_f16_e32 v67, v110, v67
	v_sub_f16_e32 v59, v108, v59
	v_mul_f16_e32 v110, 0x388b, v30
	v_add_f16_e32 v64, v99, v64
	v_mul_f16_e32 v99, 0x2fb7, v53
	v_mul_f16_e32 v53, 0xb5ac, v53
	v_add_f16_e32 v59, v11, v59
	v_sub_f16_e32 v85, v110, v85
	v_add_f16_e32 v64, v105, v64
	v_mul_f16_e32 v105, 0xb5ac, v26
	v_add_f16_e32 v51, v51, v53
	v_add_f16_e32 v59, v67, v59
	v_mul_f16_e32 v67, 0xb9fd, v57
	v_add_f16_e32 v64, v107, v64
	v_mul_f16_e32 v107, 0xb5ac, v57
	v_add_f16_sdwa v51, v11, v51 dst_sel:DWORD dst_unused:UNUSED_PAD src0_sel:WORD_1 src1_sel:DWORD
	v_add_f16_e32 v59, v85, v59
	v_add_f16_e32 v63, v63, v67
	v_mul_f16_e32 v67, 0xbbc4, v38
	v_add_f16_e32 v39, v39, v96
	v_sub_f16_e32 v48, v105, v48
	v_add_f16_e32 v42, v42, v107
	v_add_f16_e32 v51, v63, v51
	v_sub_f16_e32 v67, v67, v92
	v_mul_f16_e32 v63, 0x3b15, v44
	v_mul_f16_e32 v92, 0xb9fd, v28
	v_add_f16_sdwa v39, v11, v39 dst_sel:DWORD dst_unused:UNUSED_PAD src0_sel:WORD_1 src1_sel:DWORD
	v_add_f16_e32 v48, v11, v48
	v_add_f16_e32 v59, v67, v59
	v_sub_f16_e32 v63, v63, v102
	v_mul_f16_e32 v102, 0xbbc4, v71
	v_sub_f16_e32 v52, v92, v52
	v_add_f16_e32 v39, v42, v39
	v_pk_add_f16 v12, v12, v16
	v_add_f16_e32 v59, v63, v59
	v_mul_f16_e32 v63, 0xbbc4, v86
	v_add_f16_e32 v42, v55, v102
	v_mul_f16_e32 v110, 0x388b, v28
	v_mul_f16_e32 v85, 0x3b15, v71
	v_add_f16_e32 v48, v52, v48
	v_add_f16_e32 v63, v100, v63
	v_mul_f16_e32 v100, 0xb9fd, v80
	v_mul_f16_e32 v52, 0x2fb7, v86
	v_add_f16_e32 v39, v42, v39
	v_sub_f16_e32 v31, v72, v31
	v_pk_add_f16 v12, v12, v19
	v_add_f16_e32 v42, v54, v100
	v_alignbit_b32 v109, v11, v11, 16
	v_add_f16_e32 v82, v82, v85
	v_mul_f16_e32 v85, 0x2fb7, v30
	v_add_f16_e32 v16, v65, v52
	v_add_f16_e32 v39, v42, v39
	;; [unrolled: 1-line block ×3, first 2 shown]
	v_sub_f16_e32 v33, v110, v33
	v_pk_add_f16 v12, v12, v20
	v_bfi_b32 v20, 0xffff, v73, v94
	v_mul_f16_e32 v67, 0x2fb7, v80
	v_add_f16_e32 v16, v16, v39
	v_add_f16_e32 v19, v33, v31
	v_sub_f16_e32 v31, v85, v47
	v_bfi_b32 v39, 0xffff, v75, v95
	v_pk_add_f16 v12, v12, v21
	v_pk_add_f16 v20, v109, v20
	v_add_f16_e32 v51, v82, v51
	v_mul_f16_e32 v82, 0xb5ac, v60
	v_add_f16_e32 v67, v87, v67
	v_add_f16_e32 v19, v31, v19
	v_bfi_b32 v31, 0xffff, v76, v90
	v_pk_add_f16 v12, v12, v22
	v_pk_add_f16 v20, v39, v20
	v_sub_f16_e32 v82, v82, v106
	v_mul_f16_e32 v106, 0x3b15, v30
	v_add_f16_e32 v51, v67, v51
	v_mul_f16_e32 v67, 0xb5ac, v38
	v_bfi_b32 v22, 0xffff, v78, v91
	v_pk_add_f16 v12, v12, v17
	v_pk_add_f16 v17, v31, v20
	v_mul_f16_e32 v108, 0x2fb7, v26
	v_add_f16_e32 v59, v82, v59
	v_mul_f16_e32 v82, 0xb9fd, v44
	v_sub_f16_e32 v69, v106, v69
	v_sub_f16_e32 v21, v67, v50
	v_bfi_b32 v20, 0xffff, v81, v93
	v_pk_add_f16 v12, v12, v18
	v_pk_add_f16 v17, v22, v17
	v_pk_mul_f16 v18, 0xb3a8, v27 op_sel_hi:[0,1]
	v_mul_f16_e32 v53, 0xbbc4, v28
	v_mul_f16_e32 v57, 0xbbc4, v57
	v_add_f16_e32 v43, v43, v99
	v_sub_f16_e32 v41, v108, v41
	v_add_f16_e32 v48, v69, v48
	v_mul_f16_e32 v69, 0xbbc4, v60
	v_mul_f16_e32 v99, 0x3b15, v101
	v_add_f16_e32 v19, v21, v19
	v_sub_f16_e32 v21, v82, v56
	v_bfi_b32 v22, 0xffff, v77, v89
	v_pk_add_f16 v12, v12, v13
	v_pk_add_f16 v13, v20, v17
	v_pk_fma_f16 v17, 0xbbc4, v26, v18 op_sel:[0,0,1] op_sel_hi:[0,1,0] neg_lo:[0,0,1] neg_hi:[0,0,1]
	v_pk_fma_f16 v18, 0xbbc4, v26, v18 op_sel:[0,0,1] op_sel_hi:[0,1,0]
	v_pk_mul_f16 v20, 0x3770, v29 op_sel_hi:[0,1]
	v_mul_f16_e32 v87, 0xb5ac, v30
	v_mul_f16_e32 v71, 0xb5ac, v71
	v_add_f16_sdwa v43, v11, v43 dst_sel:DWORD dst_unused:UNUSED_PAD src0_sel:WORD_1 src1_sel:DWORD
	v_add_f16_e32 v49, v49, v57
	v_add_f16_e32 v41, v11, v41
	v_sub_f16_e32 v46, v53, v46
	v_add_f16_e32 v33, v84, v99
	v_add_f16_e32 v19, v21, v19
	v_sub_f16_e32 v21, v69, v79
	v_pk_add_f16 v12, v12, v14
	v_pk_add_f16 v13, v22, v13
	v_bfi_b32 v14, 0xffff, v17, v18
	v_pk_fma_f16 v22, 0x3b15, v28, v20 op_sel:[0,0,1] op_sel_hi:[0,1,0] neg_lo:[0,0,1] neg_hi:[0,0,1]
	v_pk_fma_f16 v20, 0x3b15, v28, v20 op_sel:[0,0,1] op_sel_hi:[0,1,0]
	v_pk_mul_f16 v26, 0xb94e, v32 op_sel_hi:[0,1]
	v_bfi_b32 v17, 0xffff, v18, v17
	v_mul_f16_e32 v105, 0x3b15, v38
	v_mul_f16_e32 v80, 0x3b15, v80
	;; [unrolled: 1-line block ×3, first 2 shown]
	v_add_f16_e32 v51, v63, v51
	v_mul_f16_e32 v63, 0x388b, v101
	v_add_f16_e32 v43, v49, v43
	v_add_f16_e32 v49, v62, v71
	v_add_f16_e32 v41, v46, v41
	v_sub_f16_e32 v46, v87, v58
	v_add_f16_e32 v16, v33, v16
	v_add_f16_e32 v19, v21, v19
	v_pk_add_f16 v12, v12, v25
	v_pk_add_f16 v14, v11, v14
	v_bfi_b32 v25, 0xffff, v22, v20
	v_pk_fma_f16 v27, 0xb9fd, v30, v26 op_sel:[0,0,1] op_sel_hi:[0,1,0] neg_lo:[0,0,1] neg_hi:[0,0,1]
	v_pk_fma_f16 v26, 0xb9fd, v30, v26 op_sel:[0,0,1] op_sel_hi:[0,1,0]
	v_pk_mul_f16 v18, 0x3a95, v40 op_sel_hi:[0,1]
	v_pk_add_f16 v11, v11, v17
	v_bfi_b32 v17, 0xffff, v20, v22
	v_mul_f16_e32 v106, 0x388b, v44
	v_mul_f16_e32 v86, 0x388b, v86
	v_add_f16_e32 v63, v104, v63
	v_mul_f16_e32 v104, 0xbbc4, v44
	v_sub_f16_e32 v74, v92, v74
	v_add_f16_e32 v43, v49, v43
	v_add_f16_e32 v49, v68, v80
	v_add_f16_e32 v41, v46, v41
	v_sub_f16_e32 v46, v105, v66
	v_alignbit_b32 v16, v16, v13, 16
	v_pack_b32_f16 v13, v19, v13
	v_pk_add_f16 v14, v25, v14
	v_bfi_b32 v19, 0xffff, v27, v26
	v_pk_fma_f16 v20, 0x388b, v38, v18 op_sel:[0,0,1] op_sel_hi:[0,1,0] neg_lo:[0,0,1] neg_hi:[0,0,1]
	v_pk_fma_f16 v18, 0x388b, v38, v18 op_sel:[0,0,1] op_sel_hi:[0,1,0]
	v_pk_mul_f16 v22, 0xbb7b, v45 op_sel_hi:[0,1]
	v_pk_add_f16 v11, v17, v11
	v_bfi_b32 v17, 0xffff, v26, v27
	v_mul_f16_e32 v92, 0xb9fd, v60
	v_mul_f16_e32 v101, 0xb9fd, v101
	;; [unrolled: 1-line block ×3, first 2 shown]
	v_add_f16_e32 v48, v74, v48
	v_sub_f16_e32 v74, v104, v88
	v_add_f16_e32 v43, v49, v43
	v_add_f16_e32 v49, v83, v86
	;; [unrolled: 1-line block ×3, first 2 shown]
	v_sub_f16_e32 v46, v106, v70
	v_pk_add_f16 v14, v19, v14
	v_bfi_b32 v19, 0xffff, v20, v18
	v_pk_fma_f16 v25, 0xb5ac, v44, v22 op_sel:[0,0,1] op_sel_hi:[0,1,0] neg_lo:[0,0,1] neg_hi:[0,0,1]
	v_pk_fma_f16 v22, 0xb5ac, v44, v22 op_sel:[0,0,1] op_sel_hi:[0,1,0]
	v_pk_mul_f16 v26, 0x3bf1, v61 op_sel_hi:[0,1]
	v_pk_add_f16 v11, v17, v11
	v_bfi_b32 v17, 0xffff, v18, v20
	v_add_f16_e32 v48, v74, v48
	v_sub_f16_e32 v53, v57, v103
	v_add_f16_e32 v43, v49, v43
	v_add_f16_e32 v49, v97, v101
	;; [unrolled: 1-line block ×3, first 2 shown]
	v_sub_f16_e32 v41, v92, v98
	v_mad_u32_u24 v21, v3, 48, v0
	v_pk_add_f16 v14, v19, v14
	v_bfi_b32 v18, 0xffff, v25, v22
	v_pk_fma_f16 v19, 0x2fb7, v60, v26 op_sel:[0,0,1] op_sel_hi:[0,1,0] neg_lo:[0,0,1] neg_hi:[0,0,1]
	v_pk_fma_f16 v20, 0x2fb7, v60, v26 op_sel:[0,0,1] op_sel_hi:[0,1,0]
	v_pk_add_f16 v11, v17, v11
	v_bfi_b32 v17, 0xffff, v22, v25
	v_add_f16_e32 v51, v63, v51
	v_add_f16_e32 v48, v53, v48
	;; [unrolled: 1-line block ×4, first 2 shown]
	ds_write_b32 v21, v12
	ds_write2_b32 v21, v13, v16 offset0:1 offset1:2
	v_pk_add_f16 v12, v18, v14
	v_bfi_b32 v13, 0xffff, v19, v20
	v_pk_add_f16 v11, v17, v11
	v_bfi_b32 v14, 0xffff, v20, v19
	v_pack_b32_f16 v16, v48, v51
	v_pack_b32_f16 v15, v15, v42
	v_pk_add_f16 v12, v13, v12
	v_pack_b32_f16 v13, v59, v64
	v_pk_add_f16 v11, v14, v11
	v_perm_b32 v14, v35, v34, 0x5040100
	v_perm_b32 v17, v23, v10, 0x5040100
	;; [unrolled: 1-line block ×5, first 2 shown]
	ds_write2_b32 v21, v15, v16 offset0:3 offset1:4
	ds_write2_b32 v21, v13, v12 offset0:5 offset1:6
	;; [unrolled: 1-line block ×5, first 2 shown]
.LBB0_15:
	s_or_b32 exec_lo, exec_lo, s1
	v_add_nc_u32_e32 v13, 0xc00, v0
	v_add_nc_u32_e32 v14, 0x500, v0
	s_waitcnt lgkmcnt(0)
	s_barrier
	buffer_gl0_inv
	ds_read2_b32 v[11:12], v0 offset1:182
	ds_read2_b32 v[15:16], v13 offset0:51 offset1:233
	ds_read2_b32 v[13:14], v14 offset0:44 offset1:226
	;; [unrolled: 1-line block ×3, first 2 shown]
	v_cmp_gt_u32_e64 s0, 0x5b, v3
	s_and_saveexec_b32 s1, s0
	s_cbranch_execz .LBB0_17
; %bb.16:
	ds_read_b32 v34, v0 offset:2912
	ds_read_b32 v36, v0 offset:6188
	s_waitcnt lgkmcnt(1)
	v_lshrrev_b32_e32 v35, 16, v34
	s_waitcnt lgkmcnt(0)
	v_lshrrev_b32_e32 v37, 16, v36
.LBB0_17:
	s_or_b32 exec_lo, exec_lo, s1
	v_add_nc_u32_e32 v9, 0x2d8, v3
	v_mov_b32_e32 v19, 0x4ec5
	v_and_b32_e32 v22, 0xff, v3
	v_add_nc_u32_e32 v29, 0x222, v3
	v_add_nc_u32_e32 v20, 0x16c, v3
	;; [unrolled: 1-line block ×3, first 2 shown]
	v_mul_u32_u24_sdwa v28, v9, v19 dst_sel:DWORD dst_unused:UNUSED_PAD src0_sel:WORD_0 src1_sel:DWORD
	v_mul_lo_u16 v27, 0x4f, v22
	v_mul_u32_u24_sdwa v22, v29, v19 dst_sel:DWORD dst_unused:UNUSED_PAD src0_sel:WORD_0 src1_sel:DWORD
	v_mul_u32_u24_sdwa v25, v20, v19 dst_sel:DWORD dst_unused:UNUSED_PAD src0_sel:WORD_0 src1_sel:DWORD
	;; [unrolled: 1-line block ×3, first 2 shown]
	v_lshrrev_b32_e32 v28, 18, v28
	v_lshrrev_b16 v30, 10, v27
	v_lshrrev_b32_e32 v22, 18, v22
	v_lshrrev_b32_e32 v31, 18, v25
	;; [unrolled: 1-line block ×3, first 2 shown]
	v_mul_lo_u16 v19, v28, 13
	v_mul_lo_u16 v33, v30, 13
	;; [unrolled: 1-line block ×5, first 2 shown]
	v_sub_nc_u16 v9, v9, v19
	v_mov_b32_e32 v19, 2
	v_sub_nc_u16 v38, v29, v38
	v_sub_nc_u16 v39, v20, v39
	;; [unrolled: 1-line block ×4, first 2 shown]
	v_lshlrev_b32_sdwa v29, v19, v9 dst_sel:DWORD dst_unused:UNUSED_PAD src0_sel:DWORD src1_sel:WORD_0
	v_lshlrev_b32_sdwa v9, v19, v38 dst_sel:DWORD dst_unused:UNUSED_PAD src0_sel:DWORD src1_sel:WORD_0
	;; [unrolled: 1-line block ×4, first 2 shown]
	v_lshlrev_b32_sdwa v33, v19, v33 dst_sel:DWORD dst_unused:UNUSED_PAD src0_sel:DWORD src1_sel:BYTE_0
	s_clause 0x4
	global_load_dword v40, v29, s[12:13]
	global_load_dword v41, v9, s[12:13]
	;; [unrolled: 1-line block ×5, first 2 shown]
	v_mov_b32_e32 v45, 0x68
	v_mul_u32_u24_e32 v32, 0x68, v32
	v_mul_u32_u24_e32 v31, 0x68, v31
	;; [unrolled: 1-line block ×3, first 2 shown]
	s_load_dwordx2 s[2:3], s[2:3], 0x0
	v_mul_u32_u24_sdwa v30, v30, v45 dst_sel:DWORD dst_unused:UNUSED_PAD src0_sel:WORD_0 src1_sel:DWORD
	v_add3_u32 v32, 0, v32, v39
	v_add3_u32 v31, 0, v31, v38
	s_waitcnt vmcnt(0) lgkmcnt(0)
	s_barrier
	v_add3_u32 v30, 0, v30, v33
	v_add3_u32 v33, 0, v22, v9
	buffer_gl0_inv
	v_mul_f16_sdwa v9, v37, v40 dst_sel:DWORD dst_unused:UNUSED_PAD src0_sel:DWORD src1_sel:WORD_1
	v_pk_mul_f16 v22, v41, v18 op_sel:[0,1]
	v_pk_mul_f16 v38, v42, v17 op_sel:[0,1]
	;; [unrolled: 1-line block ×4, first 2 shown]
	v_mul_f16_sdwa v46, v36, v40 dst_sel:DWORD dst_unused:UNUSED_PAD src0_sel:DWORD src1_sel:WORD_1
	v_pk_fma_f16 v47, v41, v18, v22 op_sel:[0,0,1] op_sel_hi:[1,1,0] neg_lo:[0,0,1] neg_hi:[0,0,1]
	v_pk_fma_f16 v48, v42, v17, v38 op_sel:[0,0,1] op_sel_hi:[1,1,0] neg_lo:[0,0,1] neg_hi:[0,0,1]
	;; [unrolled: 1-line block ×4, first 2 shown]
	v_pk_fma_f16 v15, v44, v15, v45 op_sel:[0,0,1] op_sel_hi:[1,0,0]
	v_pk_fma_f16 v16, v43, v16, v39 op_sel:[0,0,1] op_sel_hi:[1,0,0]
	;; [unrolled: 1-line block ×4, first 2 shown]
	v_fma_f16 v9, v36, v40, -v9
	v_bfi_b32 v15, 0xffff, v50, v15
	v_bfi_b32 v16, 0xffff, v49, v16
	;; [unrolled: 1-line block ×4, first 2 shown]
	v_fmac_f16_e32 v46, v37, v40
	v_pk_add_f16 v15, v11, v15 neg_lo:[0,1] neg_hi:[0,1]
	v_pk_add_f16 v16, v12, v16 neg_lo:[0,1] neg_hi:[0,1]
	v_pk_add_f16 v17, v13, v17 neg_lo:[0,1] neg_hi:[0,1]
	v_pk_add_f16 v18, v14, v18 neg_lo:[0,1] neg_hi:[0,1]
	v_sub_f16_e32 v9, v34, v9
	v_pk_fma_f16 v11, v11, 2.0, v15 op_sel_hi:[1,0,1] neg_lo:[0,0,1] neg_hi:[0,0,1]
	v_sub_f16_e32 v22, v35, v46
	v_pk_fma_f16 v12, v12, 2.0, v16 op_sel_hi:[1,0,1] neg_lo:[0,0,1] neg_hi:[0,0,1]
	v_pk_fma_f16 v13, v13, 2.0, v17 op_sel_hi:[1,0,1] neg_lo:[0,0,1] neg_hi:[0,0,1]
	v_pk_fma_f16 v14, v14, 2.0, v18 op_sel_hi:[1,0,1] neg_lo:[0,0,1] neg_hi:[0,0,1]
	ds_write2_b32 v30, v11, v15 offset1:13
	ds_write2_b32 v32, v12, v16 offset1:13
	;; [unrolled: 1-line block ×4, first 2 shown]
	s_and_saveexec_b32 s1, s0
	s_cbranch_execz .LBB0_19
; %bb.18:
	v_mul_lo_u16 v11, v28, 26
	v_fma_f16 v12, v34, 2.0, -v9
	v_fma_f16 v13, v35, 2.0, -v22
	v_lshlrev_b32_sdwa v11, v19, v11 dst_sel:DWORD dst_unused:UNUSED_PAD src0_sel:DWORD src1_sel:WORD_0
	v_pack_b32_f16 v12, v12, v13
	v_perm_b32 v13, v22, v9, 0x5040100
	v_add3_u32 v11, 0, v29, v11
	ds_write2_b32 v11, v12, v13 offset1:13
.LBB0_19:
	s_or_b32 exec_lo, exec_lo, s1
	v_lshrrev_b16 v32, 11, v27
	v_lshrrev_b32_e32 v33, 19, v26
	v_lshrrev_b32_e32 v25, 19, v25
	v_mov_b32_e32 v12, 3
	s_waitcnt lgkmcnt(0)
	v_mul_lo_u16 v11, v32, 26
	v_mul_lo_u16 v13, v33, 26
	s_barrier
	buffer_gl0_inv
	v_add_nc_u32_e32 v28, 0x1000, v0
	v_sub_nc_u16 v34, v3, v11
	v_mul_lo_u16 v11, v25, 26
	v_sub_nc_u16 v35, v21, v13
	v_add_nc_u32_e32 v30, 0xb00, v0
	v_mov_b32_e32 v38, 0x138
	v_lshlrev_b32_sdwa v13, v12, v34 dst_sel:DWORD dst_unused:UNUSED_PAD src0_sel:DWORD src1_sel:BYTE_0
	v_sub_nc_u16 v36, v20, v11
	v_lshlrev_b32_sdwa v11, v12, v35 dst_sel:DWORD dst_unused:UNUSED_PAD src0_sel:DWORD src1_sel:WORD_0
	v_mul_u32_u24_e32 v33, 0x138, v33
	v_mul_u32_u24_sdwa v32, v32, v38 dst_sel:DWORD dst_unused:UNUSED_PAD src0_sel:WORD_0 src1_sel:DWORD
	global_load_dwordx2 v[13:14], v13, s[12:13] offset:52
	v_lshlrev_b32_sdwa v12, v12, v36 dst_sel:DWORD dst_unused:UNUSED_PAD src0_sel:DWORD src1_sel:WORD_0
	v_lshlrev_b32_sdwa v34, v19, v34 dst_sel:DWORD dst_unused:UNUSED_PAD src0_sel:DWORD src1_sel:BYTE_0
	v_lshlrev_b32_sdwa v35, v19, v35 dst_sel:DWORD dst_unused:UNUSED_PAD src0_sel:DWORD src1_sel:WORD_0
	s_clause 0x1
	global_load_dwordx2 v[15:16], v11, s[12:13] offset:52
	global_load_dwordx2 v[17:18], v12, s[12:13] offset:52
	v_add_nc_u32_e32 v11, 0x500, v0
	ds_read2_b32 v[26:27], v0 offset1:182
	ds_read_b32 v37, v0 offset:5824
	v_add3_u32 v32, 0, v32, v34
	v_add3_u32 v33, 0, v33, v35
	v_mul_u32_u24_e32 v25, 0x138, v25
	ds_read2_b32 v[11:12], v11 offset0:44 offset1:226
	ds_read2_b32 v[28:29], v28 offset0:68 offset1:250
	;; [unrolled: 1-line block ×3, first 2 shown]
	v_lshlrev_b32_sdwa v19, v19, v36 dst_sel:DWORD dst_unused:UNUSED_PAD src0_sel:DWORD src1_sel:WORD_0
	v_add_nc_u32_e32 v39, 0x700, v0
	v_add_nc_u32_e32 v40, 0xe80, v0
	s_waitcnt vmcnt(0) lgkmcnt(0)
	s_barrier
	v_add3_u32 v19, 0, v25, v19
	buffer_gl0_inv
	v_cmp_gt_u32_e64 s1, 52, v3
	v_lshrrev_b32_e32 v36, 16, v26
	v_lshrrev_b32_e32 v41, 16, v37
	;; [unrolled: 1-line block ×9, first 2 shown]
	v_mul_f16_sdwa v45, v13, v34 dst_sel:DWORD dst_unused:UNUSED_PAD src0_sel:WORD_1 src1_sel:DWORD
	v_mul_f16_sdwa v46, v13, v12 dst_sel:DWORD dst_unused:UNUSED_PAD src0_sel:WORD_1 src1_sel:DWORD
	;; [unrolled: 1-line block ×10, first 2 shown]
	v_mul_f16_sdwa v55, v41, v18 dst_sel:DWORD dst_unused:UNUSED_PAD src0_sel:DWORD src1_sel:WORD_1
	v_mul_f16_sdwa v56, v37, v18 dst_sel:DWORD dst_unused:UNUSED_PAD src0_sel:DWORD src1_sel:WORD_1
	v_fma_f16 v12, v13, v12, -v45
	v_fmac_f16_e32 v46, v13, v34
	v_fma_f16 v13, v14, v28, -v47
	v_fmac_f16_e32 v48, v14, v35
	;; [unrolled: 2-line block ×6, first 2 shown]
	v_add_f16_e32 v18, v26, v12
	v_add_f16_e32 v28, v12, v13
	;; [unrolled: 1-line block ×7, first 2 shown]
	v_sub_f16_e32 v29, v46, v48
	v_add_f16_e32 v30, v36, v46
	v_sub_f16_e32 v12, v12, v13
	v_add_f16_e32 v34, v27, v14
	v_add_f16_e32 v13, v18, v13
	v_fma_f16 v18, -0.5, v28, v26
	v_fmac_f16_e32 v36, -0.5, v31
	v_add_f16_e32 v41, v38, v50
	v_add_f16_e32 v43, v11, v16
	;; [unrolled: 1-line block ×3, first 2 shown]
	v_sub_f16_e32 v37, v50, v52
	v_sub_f16_e32 v14, v14, v15
	v_fmac_f16_e32 v27, -0.5, v35
	v_fmac_f16_e32 v38, -0.5, v42
	v_sub_f16_e32 v45, v54, v56
	v_sub_f16_e32 v16, v16, v17
	v_fmac_f16_e32 v11, -0.5, v44
	v_fmac_f16_e32 v25, -0.5, v47
	v_add_f16_e32 v28, v30, v48
	v_add_f16_e32 v15, v34, v15
	v_fmamk_f16 v34, v29, 0x3aee, v18
	v_fmac_f16_e32 v18, 0xbaee, v29
	v_fmamk_f16 v29, v12, 0xbaee, v36
	v_add_f16_e32 v30, v41, v52
	v_add_f16_e32 v17, v43, v17
	v_add_f16_e32 v31, v46, v56
	v_fmac_f16_e32 v36, 0x3aee, v12
	v_fmamk_f16 v35, v37, 0x3aee, v27
	v_fmac_f16_e32 v27, 0xbaee, v37
	v_fmamk_f16 v37, v14, 0xbaee, v38
	;; [unrolled: 2-line block ×4, first 2 shown]
	v_fmac_f16_e32 v25, 0x3aee, v16
	v_pack_b32_f16 v13, v13, v28
	v_pack_b32_f16 v16, v34, v29
	;; [unrolled: 1-line block ×9, first 2 shown]
	ds_write2_b32 v32, v13, v16 offset1:26
	ds_write_b32 v32, v17 offset:208
	ds_write2_b32 v33, v14, v18 offset1:26
	ds_write_b32 v33, v27 offset:208
	;; [unrolled: 2-line block ×3, first 2 shown]
	s_waitcnt lgkmcnt(0)
	s_barrier
	buffer_gl0_inv
	ds_read2_b32 v[14:15], v0 offset1:234
	ds_read2_b32 v[18:19], v39 offset0:20 offset1:254
	ds_read2_b32 v[16:17], v40 offset0:8 offset1:242
	ds_read_b32 v29, v0 offset:5616
                                        ; implicit-def: $vgpr27
                                        ; implicit-def: $vgpr28
	s_and_saveexec_b32 s4, s1
	s_cbranch_execz .LBB0_21
; %bb.20:
	v_add_nc_u32_e32 v4, 0x2c0, v0
	v_add_nc_u32_e32 v7, 0xa00, v0
	;; [unrolled: 1-line block ×3, first 2 shown]
	ds_read_b32 v28, v0 offset:6344
	ds_read2_b32 v[12:13], v4 offset0:6 offset1:240
	ds_read2_b32 v[9:10], v7 offset0:10 offset1:244
	;; [unrolled: 1-line block ×3, first 2 shown]
	ds_read_u16 v22, v0 offset:2602
	s_waitcnt lgkmcnt(4)
	v_lshrrev_b32_e32 v27, 16, v28
	s_waitcnt lgkmcnt(3)
	v_lshrrev_b32_e32 v26, 16, v12
	;; [unrolled: 2-line block ×4, first 2 shown]
	v_lshrrev_b32_e32 v24, 16, v8
	v_lshrrev_b32_e32 v25, 16, v13
	v_mov_b32_e32 v11, v13
.LBB0_21:
	s_or_b32 exec_lo, exec_lo, s4
	v_lshrrev_b16 v13, 1, v3
	v_mov_b32_e32 v31, 6
	v_mov_b32_e32 v37, 0x888
	;; [unrolled: 1-line block ×3, first 2 shown]
	s_waitcnt lgkmcnt(0)
	v_lshrrev_b32_e32 v41, 16, v29
	v_and_b32_e32 v13, 0x7f, v13
	v_lshrrev_b32_e32 v39, 16, v19
	v_lshrrev_b32_e32 v40, 16, v16
	v_mul_lo_u16 v13, 0xd3, v13
	v_lshrrev_b16 v13, 13, v13
	v_mul_lo_u16 v30, 0x4e, v13
	v_mul_u32_u24_sdwa v13, v13, v37 dst_sel:DWORD dst_unused:UNUSED_PAD src0_sel:WORD_0 src1_sel:DWORD
	v_lshrrev_b32_e32 v37, 16, v15
	v_sub_nc_u16 v36, v3, v30
	v_mul_u32_u24_sdwa v30, v36, v31 dst_sel:DWORD dst_unused:UNUSED_PAD src0_sel:BYTE_0 src1_sel:DWORD
	v_lshlrev_b32_sdwa v36, v38, v36 dst_sel:DWORD dst_unused:UNUSED_PAD src0_sel:DWORD src1_sel:BYTE_0
	v_lshrrev_b32_e32 v38, 16, v18
	v_lshlrev_b32_e32 v34, 2, v30
	v_add3_u32 v13, 0, v13, v36
	v_lshrrev_b32_e32 v36, 16, v17
	s_clause 0x1
	global_load_dwordx4 v[30:33], v34, s[12:13] offset:260
	global_load_dwordx2 v[34:35], v34, s[12:13] offset:276
	v_add_nc_u32_e32 v42, 0x400, v13
	s_waitcnt vmcnt(0)
	s_barrier
	buffer_gl0_inv
	v_mul_f16_sdwa v43, v30, v37 dst_sel:DWORD dst_unused:UNUSED_PAD src0_sel:WORD_1 src1_sel:DWORD
	v_mul_f16_sdwa v44, v30, v15 dst_sel:DWORD dst_unused:UNUSED_PAD src0_sel:WORD_1 src1_sel:DWORD
	;; [unrolled: 1-line block ×12, first 2 shown]
	v_fma_f16 v15, v30, v15, -v43
	v_fmac_f16_e32 v44, v30, v37
	v_fma_f16 v18, v31, v18, -v45
	v_fmac_f16_e32 v46, v31, v38
	;; [unrolled: 2-line block ×6, first 2 shown]
	v_add_f16_e32 v30, v15, v29
	v_add_f16_e32 v31, v44, v54
	;; [unrolled: 1-line block ×4, first 2 shown]
	v_sub_f16_e32 v15, v15, v29
	v_sub_f16_e32 v29, v44, v54
	;; [unrolled: 1-line block ×4, first 2 shown]
	v_add_f16_e32 v34, v19, v16
	v_add_f16_e32 v35, v48, v50
	v_sub_f16_e32 v16, v16, v19
	v_sub_f16_e32 v19, v50, v48
	v_add_f16_e32 v36, v32, v30
	v_add_f16_e32 v37, v33, v31
	v_sub_f16_e32 v38, v32, v30
	v_sub_f16_e32 v39, v33, v31
	;; [unrolled: 1-line block ×6, first 2 shown]
	v_add_f16_e32 v40, v16, v17
	v_add_f16_e32 v41, v19, v18
	v_sub_f16_e32 v43, v16, v17
	v_sub_f16_e32 v44, v19, v18
	;; [unrolled: 1-line block ×4, first 2 shown]
	v_add_f16_e32 v34, v34, v36
	v_add_f16_e32 v35, v35, v37
	v_sub_f16_e32 v16, v15, v16
	v_sub_f16_e32 v19, v29, v19
	v_add_f16_e32 v15, v40, v15
	v_add_f16_e32 v29, v41, v29
	v_mul_f16_e32 v30, 0x3a52, v30
	v_mul_f16_e32 v31, 0x3a52, v31
	;; [unrolled: 1-line block ×8, first 2 shown]
	v_add_f16_e32 v45, v34, v14
	v_add_f16_sdwa v14, v35, v14 dst_sel:DWORD dst_unused:UNUSED_PAD src0_sel:DWORD src1_sel:WORD_1
	v_fmamk_f16 v32, v32, 0x2b26, v30
	v_fmamk_f16 v33, v33, 0x2b26, v31
	v_fma_f16 v36, v38, 0x39e0, -v36
	v_fma_f16 v37, v39, 0x39e0, -v37
	;; [unrolled: 1-line block ×4, first 2 shown]
	v_fmamk_f16 v38, v16, 0x3574, v40
	v_fmamk_f16 v39, v19, 0x3574, v41
	v_fma_f16 v17, v17, 0x3b00, -v40
	v_fma_f16 v18, v18, 0x3b00, -v41
	;; [unrolled: 1-line block ×4, first 2 shown]
	v_fmamk_f16 v34, v34, 0xbcab, v45
	v_fmamk_f16 v35, v35, 0xbcab, v14
	v_fmac_f16_e32 v38, 0x370e, v15
	v_fmac_f16_e32 v39, 0x370e, v29
	;; [unrolled: 1-line block ×6, first 2 shown]
	v_add_f16_e32 v15, v32, v34
	v_add_f16_e32 v29, v33, v35
	;; [unrolled: 1-line block ×7, first 2 shown]
	v_sub_f16_e32 v35, v29, v38
	v_add_f16_e32 v36, v19, v30
	v_sub_f16_e32 v37, v31, v16
	v_sub_f16_e32 v40, v32, v18
	v_add_f16_e32 v41, v17, v33
	v_add_f16_e32 v18, v18, v32
	v_sub_f16_e32 v17, v33, v17
	v_sub_f16_e32 v19, v30, v19
	v_add_f16_e32 v16, v16, v31
	v_sub_f16_e32 v15, v15, v39
	v_add_f16_e32 v29, v38, v29
	v_pack_b32_f16 v14, v45, v14
	v_pack_b32_f16 v30, v34, v35
	v_pack_b32_f16 v31, v36, v37
	v_pack_b32_f16 v32, v40, v41
	v_pack_b32_f16 v17, v18, v17
	v_pack_b32_f16 v16, v19, v16
	v_pack_b32_f16 v15, v15, v29
	ds_write2_b32 v13, v14, v30 offset1:78
	ds_write2_b32 v13, v31, v32 offset0:156 offset1:234
	ds_write2_b32 v42, v17, v16 offset0:56 offset1:134
	ds_write_b32 v13, v15 offset:1872
	s_and_saveexec_b32 s4, s1
	s_cbranch_execz .LBB0_23
; %bb.22:
	v_lshrrev_b16 v13, 1, v21
	v_mov_b32_e32 v14, 0x6907
	v_mul_u32_u24_sdwa v13, v13, v14 dst_sel:DWORD dst_unused:UNUSED_PAD src0_sel:WORD_0 src1_sel:DWORD
	v_lshrrev_b32_e32 v13, 20, v13
	v_mul_lo_u16 v13, 0x4e, v13
	v_sub_nc_u16 v13, v21, v13
	v_and_b32_e32 v19, 0xffff, v13
	v_mul_u32_u24_e32 v13, 6, v19
	v_lshl_add_u32 v19, v19, 2, 0
	v_lshlrev_b32_e32 v17, 2, v13
	v_add_nc_u32_e32 v29, 0x1000, v19
	v_add_nc_u32_e32 v30, 0x1200, v19
	;; [unrolled: 1-line block ×3, first 2 shown]
	s_clause 0x1
	global_load_dwordx4 v[13:16], v17, s[12:13] offset:260
	global_load_dwordx2 v[17:18], v17, s[12:13] offset:276
	s_waitcnt vmcnt(1)
	v_mul_f16_sdwa v32, v25, v13 dst_sel:DWORD dst_unused:UNUSED_PAD src0_sel:DWORD src1_sel:WORD_1
	s_waitcnt vmcnt(0)
	v_mul_f16_sdwa v33, v27, v18 dst_sel:DWORD dst_unused:UNUSED_PAD src0_sel:DWORD src1_sel:WORD_1
	v_mul_f16_sdwa v36, v22, v14 dst_sel:DWORD dst_unused:UNUSED_PAD src0_sel:DWORD src1_sel:WORD_1
	;; [unrolled: 1-line block ×11, first 2 shown]
	v_fma_f16 v11, v11, v13, -v32
	v_fma_f16 v28, v28, v18, -v33
	;; [unrolled: 1-line block ×4, first 2 shown]
	v_fmac_f16_e32 v38, v27, v18
	v_fmac_f16_e32 v39, v25, v13
	;; [unrolled: 1-line block ×4, first 2 shown]
	v_fma_f16 v7, v7, v16, -v34
	v_fma_f16 v10, v10, v15, -v35
	v_fmac_f16_e32 v40, v23, v15
	v_fmac_f16_e32 v41, v4, v16
	v_sub_f16_e32 v4, v11, v28
	v_sub_f16_e32 v14, v9, v8
	v_add_f16_e32 v15, v39, v38
	v_add_f16_e32 v17, v43, v42
	;; [unrolled: 1-line block ×4, first 2 shown]
	v_sub_f16_e32 v13, v7, v10
	v_add_f16_e32 v16, v40, v41
	v_add_f16_e32 v7, v10, v7
	v_sub_f16_e32 v9, v39, v38
	v_sub_f16_e32 v10, v41, v40
	;; [unrolled: 1-line block ×3, first 2 shown]
	v_add_f16_e32 v27, v17, v15
	v_add_f16_e32 v33, v8, v11
	v_sub_f16_e32 v22, v4, v13
	v_sub_f16_e32 v23, v13, v14
	v_add_f16_e32 v13, v13, v14
	v_sub_f16_e32 v24, v15, v16
	v_sub_f16_e32 v25, v16, v17
	;; [unrolled: 1-line block ×6, first 2 shown]
	v_add_f16_e32 v10, v10, v18
	v_sub_f16_e32 v14, v14, v4
	v_sub_f16_e32 v8, v8, v11
	;; [unrolled: 1-line block ×3, first 2 shown]
	v_add_f16_e32 v16, v16, v27
	v_add_f16_e32 v7, v7, v33
	v_sub_f16_e32 v15, v17, v15
	v_mul_f16_e32 v17, 0xb846, v23
	v_add_f16_e32 v4, v13, v4
	v_mul_f16_e32 v13, 0x3a52, v24
	v_mul_f16_e32 v23, 0x3a52, v28
	;; [unrolled: 1-line block ×3, first 2 shown]
	v_add_f16_e32 v9, v10, v9
	v_mul_f16_e32 v10, 0x3b00, v14
	v_mul_f16_e32 v28, 0x3b00, v11
	v_add_f16_e32 v26, v26, v16
	v_add_f16_e32 v12, v12, v7
	v_mul_f16_e32 v18, 0x2b26, v25
	v_mul_f16_e32 v24, 0x2b26, v32
	v_fmamk_f16 v33, v22, 0x3574, v17
	v_fmamk_f16 v25, v25, 0x2b26, v13
	;; [unrolled: 1-line block ×4, first 2 shown]
	v_fma_f16 v10, v22, 0xb574, -v10
	v_fma_f16 v22, v8, 0xb9e0, -v23
	;; [unrolled: 1-line block ×5, first 2 shown]
	v_fmamk_f16 v16, v16, 0xbcab, v26
	v_fmamk_f16 v7, v7, 0xbcab, v12
	v_fma_f16 v13, v15, 0xb9e0, -v13
	v_fma_f16 v15, v15, 0x39e0, -v18
	;; [unrolled: 1-line block ×3, first 2 shown]
	v_fmac_f16_e32 v33, 0x370e, v4
	v_fmac_f16_e32 v35, 0x370e, v9
	;; [unrolled: 1-line block ×6, first 2 shown]
	v_pack_b32_f16 v4, v12, v26
	v_add_f16_e32 v9, v25, v16
	v_add_f16_e32 v12, v32, v7
	;; [unrolled: 1-line block ×7, first 2 shown]
	v_sub_f16_e32 v16, v12, v35
	v_sub_f16_e32 v9, v9, v33
	v_add_f16_e32 v12, v35, v12
	v_add_f16_e32 v18, v10, v13
	v_sub_f16_e32 v22, v15, v14
	v_add_f16_e32 v14, v14, v15
	v_sub_f16_e32 v10, v13, v10
	;; [unrolled: 2-line block ×4, first 2 shown]
	v_pack_b32_f16 v9, v12, v9
	v_pack_b32_f16 v10, v13, v10
	;; [unrolled: 1-line block ×6, first 2 shown]
	ds_write2_b32 v29, v4, v9 offset0:68 offset1:146
	ds_write2_b32 v30, v10, v12 offset0:96 offset1:174
	;; [unrolled: 1-line block ×3, first 2 shown]
	ds_write_b32 v19, v8 offset:6240
.LBB0_23:
	s_or_b32 exec_lo, exec_lo, s4
	v_lshlrev_b32_e32 v7, 1, v3
	v_mov_b32_e32 v8, 0
	s_waitcnt lgkmcnt(0)
	s_barrier
	buffer_gl0_inv
	v_add_nc_u32_e32 v23, 0xb00, v0
	v_lshlrev_b64 v[9:10], 2, v[7:8]
	v_lshlrev_b32_e32 v7, 1, v21
	ds_read2_b32 v[15:16], v0 offset1:182
	s_add_u32 s4, s12, 0x1964
	s_addc_u32 s5, s13, 0
	s_mov_b32 s6, exec_lo
	v_add_co_u32 v4, s1, s12, v9
	v_lshlrev_b64 v[11:12], 2, v[7:8]
	v_add_co_ci_u32_e64 v10, s1, s13, v10, s1
	v_lshlrev_b32_e32 v7, 1, v20
	v_add_co_u32 v9, s1, 0x800, v4
	v_add_co_ci_u32_e64 v10, s1, 0, v10, s1
	v_add_co_u32 v4, s1, s12, v11
	v_add_co_ci_u32_e64 v14, s1, s13, v12, s1
	v_lshlrev_b64 v[11:12], 2, v[7:8]
	v_add_co_u32 v13, s1, 0x800, v4
	v_add_co_ci_u32_e64 v14, s1, 0, v14, s1
	global_load_dwordx2 v[9:10], v[9:10], off offset:84
	v_add_co_u32 v4, s1, s12, v11
	v_add_co_ci_u32_e64 v7, s1, s13, v12, s1
	global_load_dwordx2 v[11:12], v[13:14], off offset:84
	v_add_co_u32 v13, s1, 0x800, v4
	v_add_co_ci_u32_e64 v14, s1, 0, v7, s1
	v_add_nc_u32_e32 v4, 0x500, v0
	v_add_nc_u32_e32 v7, 0x1000, v0
	s_waitcnt lgkmcnt(0)
	v_lshrrev_b32_e32 v25, 16, v15
	global_load_dwordx2 v[13:14], v[13:14], off offset:84
	ds_read_b32 v24, v0 offset:5824
	ds_read2_b32 v[17:18], v4 offset0:44 offset1:226
	ds_read2_b32 v[19:20], v7 offset0:68 offset1:250
	;; [unrolled: 1-line block ×3, first 2 shown]
	v_lshrrev_b32_e32 v26, 16, v16
	s_waitcnt vmcnt(0) lgkmcnt(0)
	s_barrier
	buffer_gl0_inv
	v_lshrrev_b32_e32 v27, 16, v24
	v_lshrrev_b32_e32 v29, 16, v18
	;; [unrolled: 1-line block ×7, first 2 shown]
	v_mul_f16_sdwa v34, v9, v29 dst_sel:DWORD dst_unused:UNUSED_PAD src0_sel:WORD_1 src1_sel:DWORD
	v_mul_f16_sdwa v35, v9, v18 dst_sel:DWORD dst_unused:UNUSED_PAD src0_sel:WORD_1 src1_sel:DWORD
	;; [unrolled: 1-line block ×4, first 2 shown]
	v_fma_f16 v18, v9, v18, -v34
	v_fmac_f16_e32 v35, v9, v29
	v_fma_f16 v9, v10, v19, -v36
	v_mul_f16_sdwa v19, v11, v31 dst_sel:DWORD dst_unused:UNUSED_PAD src0_sel:WORD_1 src1_sel:DWORD
	v_mul_f16_sdwa v29, v11, v21 dst_sel:DWORD dst_unused:UNUSED_PAD src0_sel:WORD_1 src1_sel:DWORD
	;; [unrolled: 1-line block ×4, first 2 shown]
	v_fmac_f16_e32 v37, v10, v30
	v_fma_f16 v10, v11, v21, -v19
	v_fmac_f16_e32 v29, v11, v31
	v_fma_f16 v11, v12, v20, -v34
	v_fmac_f16_e32 v36, v12, v32
	v_mul_f16_sdwa v12, v13, v33 dst_sel:DWORD dst_unused:UNUSED_PAD src0_sel:WORD_1 src1_sel:DWORD
	v_mul_f16_sdwa v19, v13, v22 dst_sel:DWORD dst_unused:UNUSED_PAD src0_sel:WORD_1 src1_sel:DWORD
	v_mul_f16_sdwa v20, v27, v14 dst_sel:DWORD dst_unused:UNUSED_PAD src0_sel:DWORD src1_sel:WORD_1
	v_mul_f16_sdwa v21, v24, v14 dst_sel:DWORD dst_unused:UNUSED_PAD src0_sel:DWORD src1_sel:WORD_1
	v_sub_f16_e32 v32, v35, v37
	v_add_f16_e32 v34, v25, v35
	v_add_f16_e32 v35, v35, v37
	;; [unrolled: 1-line block ×4, first 2 shown]
	v_sub_f16_e32 v18, v18, v9
	v_fma_f16 v12, v13, v22, -v12
	v_fmac_f16_e32 v19, v13, v33
	v_fma_f16 v13, v24, v14, -v20
	v_fmac_f16_e32 v21, v27, v14
	v_fmac_f16_e32 v25, -0.5, v35
	v_add_f16_e32 v22, v10, v11
	v_sub_f16_e32 v24, v29, v36
	v_add_f16_e32 v27, v26, v29
	v_add_f16_e32 v29, v29, v36
	;; [unrolled: 1-line block ×3, first 2 shown]
	v_fma_f16 v14, -0.5, v31, v15
	v_fmamk_f16 v31, v18, 0xbaee, v25
	v_fmac_f16_e32 v25, 0x3aee, v18
	v_fmac_f16_e32 v16, -0.5, v22
	v_add_f16_e32 v18, v27, v36
	v_fmac_f16_e32 v26, -0.5, v29
	v_add_f16_e32 v22, v12, v13
	v_sub_f16_e32 v27, v19, v21
	v_add_f16_e32 v29, v28, v19
	v_add_f16_e32 v19, v19, v21
	;; [unrolled: 1-line block ×4, first 2 shown]
	v_sub_f16_e32 v10, v10, v11
	v_add_f16_e32 v11, v20, v11
	v_add_f16_e32 v20, v17, v12
	v_sub_f16_e32 v12, v12, v13
	v_fmac_f16_e32 v17, -0.5, v22
	v_fmac_f16_e32 v28, -0.5, v19
	v_fmamk_f16 v30, v32, 0x3aee, v14
	v_fmac_f16_e32 v14, 0xbaee, v32
	v_pack_b32_f16 v9, v9, v15
	v_fmamk_f16 v15, v24, 0x3aee, v16
	v_fmac_f16_e32 v16, 0xbaee, v24
	v_fmamk_f16 v24, v10, 0xbaee, v26
	v_fmac_f16_e32 v26, 0x3aee, v10
	v_add_f16_e32 v10, v20, v13
	v_add_f16_e32 v13, v29, v21
	v_pack_b32_f16 v11, v11, v18
	v_fmamk_f16 v18, v27, 0x3aee, v17
	v_fmamk_f16 v20, v12, 0xbaee, v28
	v_fmac_f16_e32 v17, 0xbaee, v27
	v_fmac_f16_e32 v28, 0x3aee, v12
	v_pack_b32_f16 v14, v14, v25
	v_pack_b32_f16 v12, v15, v24
	;; [unrolled: 1-line block ×7, first 2 shown]
	ds_write2_b32 v0, v9, v11 offset1:182
	ds_write2_b32 v7, v14, v15 offset0:68 offset1:250
	ds_write2_b32 v4, v10, v19 offset0:44 offset1:226
	;; [unrolled: 1-line block ×3, first 2 shown]
	ds_write_b32 v0, v16 offset:5824
	s_waitcnt lgkmcnt(0)
	s_barrier
	buffer_gl0_inv
	ds_read_b32 v7, v0
	v_lshlrev_b32_e32 v4, 2, v3
                                        ; implicit-def: $vgpr14
                                        ; implicit-def: $vgpr13
                                        ; implicit-def: $vgpr12
                                        ; implicit-def: $vgpr9_vgpr10
	v_sub_nc_u32_e32 v11, 0, v4
	v_cmpx_ne_u32_e32 0, v3
	s_xor_b32 s6, exec_lo, s6
	s_cbranch_execz .LBB0_25
; %bb.24:
	v_mov_b32_e32 v4, v8
	v_lshlrev_b64 v[8:9], 2, v[3:4]
	v_add_co_u32 v8, s1, s4, v8
	v_add_co_ci_u32_e64 v9, s1, s5, v9, s1
	global_load_dword v8, v[8:9], off
	ds_read_b32 v9, v11 offset:6552
	s_waitcnt lgkmcnt(0)
	v_sub_f16_e32 v10, v7, v9
	v_add_f16_sdwa v12, v9, v7 dst_sel:DWORD dst_unused:UNUSED_PAD src0_sel:WORD_1 src1_sel:WORD_1
	v_sub_f16_sdwa v13, v7, v9 dst_sel:DWORD dst_unused:UNUSED_PAD src0_sel:WORD_1 src1_sel:WORD_1
	v_add_f16_e32 v7, v9, v7
	v_mul_f16_e32 v10, 0.5, v10
	v_mul_f16_e32 v9, 0.5, v12
	;; [unrolled: 1-line block ×3, first 2 shown]
	s_waitcnt vmcnt(0)
	v_lshrrev_b32_e32 v14, 16, v8
	v_mul_f16_e32 v13, v14, v10
	v_fma_f16 v15, v9, v14, v12
	v_fma_f16 v14, v9, v14, -v12
	v_fma_f16 v16, 0.5, v7, v13
	v_fma_f16 v7, v7, 0.5, -v13
	v_fma_f16 v12, -v8, v10, v15
	v_fma_f16 v14, -v8, v10, v14
	v_fmac_f16_e32 v16, v8, v9
	v_fma_f16 v13, -v8, v9, v7
	v_mov_b32_e32 v10, v4
	v_mov_b32_e32 v9, v3
                                        ; implicit-def: $vgpr7
	ds_write_b16 v0, v16
.LBB0_25:
	s_andn2_saveexec_b32 s1, s6
	s_cbranch_execz .LBB0_27
; %bb.26:
	v_mov_b32_e32 v12, 0
	v_mov_b32_e32 v9, 0
	s_waitcnt lgkmcnt(0)
	v_add_f16_sdwa v8, v7, v7 dst_sel:DWORD dst_unused:UNUSED_PAD src0_sel:WORD_1 src1_sel:DWORD
	v_sub_f16_sdwa v13, v7, v7 dst_sel:DWORD dst_unused:UNUSED_PAD src0_sel:DWORD src1_sel:WORD_1
	v_mov_b32_e32 v10, 0
	ds_read_u16 v4, v12 offset:3278
	v_mov_b32_e32 v14, 0
	s_waitcnt lgkmcnt(0)
	v_xor_b32_e32 v4, 0x8000, v4
	ds_write_b16 v0, v8
	ds_write_b16 v12, v4 offset:3278
.LBB0_27:
	s_or_b32 exec_lo, exec_lo, s1
	s_waitcnt lgkmcnt(0)
	v_lshlrev_b64 v[7:8], 2, v[9:10]
	v_perm_b32 v13, v14, v13, 0x5040100
	v_add_co_u32 v7, s1, s4, v7
	v_add_co_ci_u32_e64 v8, s1, s5, v8, s1
	s_clause 0x1
	global_load_dword v4, v[7:8], off offset:728
	global_load_dword v9, v[7:8], off offset:1456
	v_add_co_u32 v7, s1, 0x800, v7
	v_add_co_ci_u32_e64 v8, s1, 0, v8, s1
	global_load_dword v10, v[7:8], off offset:136
	ds_write_b16 v0, v12 offset:2
	ds_write_b32 v11, v13 offset:6552
	ds_read_b32 v12, v0 offset:728
	ds_read_b32 v13, v11 offset:5824
	s_waitcnt lgkmcnt(0)
	v_pk_add_f16 v14, v12, v13 neg_lo:[0,1] neg_hi:[0,1]
	v_pk_add_f16 v12, v12, v13
	v_bfi_b32 v13, 0xffff, v14, v12
	v_bfi_b32 v12, 0xffff, v12, v14
	v_pk_mul_f16 v13, v13, 0.5 op_sel_hi:[1,0]
	v_pk_mul_f16 v12, v12, 0.5 op_sel_hi:[1,0]
	s_waitcnt vmcnt(2)
	v_pk_fma_f16 v14, v4, v13, v12 op_sel:[1,0,0]
	v_pk_mul_f16 v15, v4, v13 op_sel_hi:[0,1]
	v_pk_fma_f16 v16, v4, v13, v12 op_sel:[1,0,0] neg_lo:[1,0,0] neg_hi:[1,0,0]
	v_pk_fma_f16 v4, v4, v13, v12 op_sel:[1,0,0] neg_lo:[0,0,1] neg_hi:[0,0,1]
	v_pk_add_f16 v12, v14, v15 op_sel:[0,1] op_sel_hi:[1,0]
	v_pk_add_f16 v13, v14, v15 op_sel:[0,1] op_sel_hi:[1,0] neg_lo:[0,1] neg_hi:[0,1]
	v_pk_add_f16 v14, v16, v15 op_sel:[0,1] op_sel_hi:[1,0] neg_lo:[0,1] neg_hi:[0,1]
	;; [unrolled: 1-line block ×3, first 2 shown]
	v_bfi_b32 v12, 0xffff, v12, v13
	v_bfi_b32 v4, 0xffff, v14, v4
	ds_write_b32 v0, v12 offset:728
	ds_write_b32 v11, v4 offset:5824
	ds_read_b32 v4, v0 offset:1456
	ds_read_b32 v12, v11 offset:5096
	s_waitcnt lgkmcnt(0)
	v_pk_add_f16 v13, v4, v12 neg_lo:[0,1] neg_hi:[0,1]
	v_pk_add_f16 v4, v4, v12
	v_bfi_b32 v12, 0xffff, v13, v4
	v_bfi_b32 v4, 0xffff, v4, v13
	v_pk_mul_f16 v12, v12, 0.5 op_sel_hi:[1,0]
	v_pk_mul_f16 v4, v4, 0.5 op_sel_hi:[1,0]
	s_waitcnt vmcnt(1)
	v_pk_mul_f16 v14, v9, v12 op_sel_hi:[0,1]
	v_pk_fma_f16 v13, v9, v12, v4 op_sel:[1,0,0]
	v_pk_fma_f16 v15, v9, v12, v4 op_sel:[1,0,0] neg_lo:[1,0,0] neg_hi:[1,0,0]
	v_pk_fma_f16 v4, v9, v12, v4 op_sel:[1,0,0] neg_lo:[0,0,1] neg_hi:[0,0,1]
	v_pk_add_f16 v9, v13, v14 op_sel:[0,1] op_sel_hi:[1,0]
	v_pk_add_f16 v12, v13, v14 op_sel:[0,1] op_sel_hi:[1,0] neg_lo:[0,1] neg_hi:[0,1]
	v_pk_add_f16 v13, v15, v14 op_sel:[0,1] op_sel_hi:[1,0] neg_lo:[0,1] neg_hi:[0,1]
	;; [unrolled: 1-line block ×3, first 2 shown]
	v_bfi_b32 v9, 0xffff, v9, v12
	v_bfi_b32 v4, 0xffff, v13, v4
	ds_write_b32 v0, v9 offset:1456
	ds_write_b32 v11, v4 offset:5096
	ds_read_b32 v4, v0 offset:2184
	ds_read_b32 v9, v11 offset:4368
	s_waitcnt lgkmcnt(0)
	v_pk_add_f16 v12, v4, v9 neg_lo:[0,1] neg_hi:[0,1]
	v_pk_add_f16 v4, v4, v9
	v_bfi_b32 v9, 0xffff, v12, v4
	v_bfi_b32 v4, 0xffff, v4, v12
	v_pk_mul_f16 v9, v9, 0.5 op_sel_hi:[1,0]
	v_pk_mul_f16 v4, v4, 0.5 op_sel_hi:[1,0]
	s_waitcnt vmcnt(0)
	v_pk_mul_f16 v13, v10, v9 op_sel_hi:[0,1]
	v_pk_fma_f16 v12, v10, v9, v4 op_sel:[1,0,0]
	v_pk_fma_f16 v14, v10, v9, v4 op_sel:[1,0,0] neg_lo:[1,0,0] neg_hi:[1,0,0]
	v_pk_fma_f16 v4, v10, v9, v4 op_sel:[1,0,0] neg_lo:[0,0,1] neg_hi:[0,0,1]
	v_pk_add_f16 v9, v12, v13 op_sel:[0,1] op_sel_hi:[1,0]
	v_pk_add_f16 v10, v12, v13 op_sel:[0,1] op_sel_hi:[1,0] neg_lo:[0,1] neg_hi:[0,1]
	v_pk_add_f16 v12, v14, v13 op_sel:[0,1] op_sel_hi:[1,0] neg_lo:[0,1] neg_hi:[0,1]
	;; [unrolled: 1-line block ×3, first 2 shown]
	v_bfi_b32 v9, 0xffff, v9, v10
	v_bfi_b32 v4, 0xffff, v12, v4
	ds_write_b32 v0, v9 offset:2184
	ds_write_b32 v11, v4 offset:4368
	s_and_saveexec_b32 s1, s0
	s_cbranch_execz .LBB0_29
; %bb.28:
	global_load_dword v4, v[7:8], off offset:864
	ds_read_b32 v7, v0 offset:2912
	ds_read_b32 v8, v11 offset:3640
	s_waitcnt lgkmcnt(0)
	v_pk_add_f16 v9, v7, v8 neg_lo:[0,1] neg_hi:[0,1]
	v_pk_add_f16 v7, v7, v8
	v_bfi_b32 v8, 0xffff, v9, v7
	v_bfi_b32 v7, 0xffff, v7, v9
	v_pk_mul_f16 v8, v8, 0.5 op_sel_hi:[1,0]
	v_pk_mul_f16 v7, v7, 0.5 op_sel_hi:[1,0]
	s_waitcnt vmcnt(0)
	v_pk_fma_f16 v9, v4, v8, v7 op_sel:[1,0,0]
	v_pk_mul_f16 v10, v4, v8 op_sel_hi:[0,1]
	v_pk_fma_f16 v12, v4, v8, v7 op_sel:[1,0,0] neg_lo:[1,0,0] neg_hi:[1,0,0]
	v_pk_fma_f16 v4, v4, v8, v7 op_sel:[1,0,0] neg_lo:[0,0,1] neg_hi:[0,0,1]
	v_pk_add_f16 v7, v9, v10 op_sel:[0,1] op_sel_hi:[1,0]
	v_pk_add_f16 v8, v9, v10 op_sel:[0,1] op_sel_hi:[1,0] neg_lo:[0,1] neg_hi:[0,1]
	v_pk_add_f16 v9, v12, v10 op_sel:[0,1] op_sel_hi:[1,0] neg_lo:[0,1] neg_hi:[0,1]
	;; [unrolled: 1-line block ×3, first 2 shown]
	v_bfi_b32 v7, 0xffff, v7, v8
	v_bfi_b32 v4, 0xffff, v9, v4
	ds_write_b32 v0, v7 offset:2912
	ds_write_b32 v11, v4 offset:3640
.LBB0_29:
	s_or_b32 exec_lo, exec_lo, s1
	s_waitcnt lgkmcnt(0)
	s_barrier
	buffer_gl0_inv
	s_and_saveexec_b32 s0, vcc_lo
	s_cbranch_execz .LBB0_32
; %bb.30:
	v_mul_lo_u32 v0, s3, v5
	v_mul_lo_u32 v4, s2, v6
	v_mad_u64_u32 v[5:6], null, s2, v5, 0
	v_lshl_add_u32 v21, v3, 2, 0
	v_add_nc_u32_e32 v7, 0xb6, v3
	v_add_nc_u32_e32 v9, 0x16c, v3
	;; [unrolled: 1-line block ×4, first 2 shown]
	ds_read2_b32 v[11:12], v21 offset1:182
	v_add3_u32 v6, v6, v4, v0
	v_mov_b32_e32 v4, 0
	v_lshlrev_b64 v[0:1], 2, v[1:2]
	v_add_nc_u32_e32 v19, 0x38e, v3
	v_lshlrev_b64 v[5:6], 2, v[5:6]
	v_mov_b32_e32 v10, v4
	v_mov_b32_e32 v14, v4
	;; [unrolled: 1-line block ×4, first 2 shown]
	v_add_co_u32 v2, vcc_lo, s10, v5
	v_add_co_ci_u32_e32 v8, vcc_lo, s11, v6, vcc_lo
	v_lshlrev_b64 v[5:6], 2, v[3:4]
	v_add_co_u32 v0, vcc_lo, v2, v0
	v_add_co_ci_u32_e32 v1, vcc_lo, v8, v1, vcc_lo
	v_mov_b32_e32 v8, v4
	v_add_co_u32 v5, vcc_lo, v0, v5
	v_add_co_ci_u32_e32 v6, vcc_lo, v1, v6, vcc_lo
	v_lshlrev_b64 v[7:8], 2, v[7:8]
	v_add_nc_u32_e32 v2, 0x500, v21
	v_lshlrev_b64 v[9:10], 2, v[9:10]
	s_waitcnt lgkmcnt(0)
	global_store_dword v[5:6], v11, off
	v_add_nc_u32_e32 v11, 0xb00, v21
	v_lshlrev_b64 v[13:14], 2, v[13:14]
	v_add_co_u32 v5, vcc_lo, v0, v7
	v_add_co_ci_u32_e32 v6, vcc_lo, v1, v8, vcc_lo
	ds_read2_b32 v[7:8], v2 offset0:44 offset1:226
	ds_read2_b32 v[17:18], v11 offset0:24 offset1:206
	v_add_co_u32 v9, vcc_lo, v0, v9
	v_lshlrev_b64 v[15:16], 2, v[15:16]
	v_add_co_ci_u32_e32 v10, vcc_lo, v1, v10, vcc_lo
	v_add_co_u32 v13, vcc_lo, v0, v13
	v_add_co_ci_u32_e32 v14, vcc_lo, v1, v14, vcc_lo
	v_add_co_u32 v15, vcc_lo, v0, v15
	v_add_co_ci_u32_e32 v16, vcc_lo, v1, v16, vcc_lo
	global_store_dword v[5:6], v12, off
	s_waitcnt lgkmcnt(1)
	global_store_dword v[9:10], v7, off
	global_store_dword v[13:14], v8, off
	s_waitcnt lgkmcnt(0)
	global_store_dword v[15:16], v17, off
	v_add_nc_u32_e32 v7, 0x444, v3
	v_mov_b32_e32 v8, v4
	v_add_nc_u32_e32 v2, 0x1000, v21
	v_lshlrev_b64 v[5:6], 2, v[19:20]
	v_add_nc_u32_e32 v9, 0x4fa, v3
	v_mov_b32_e32 v10, v4
	v_lshlrev_b64 v[7:8], 2, v[7:8]
	ds_read2_b32 v[11:12], v2 offset0:68 offset1:250
	v_add_nc_u32_e32 v13, 0x5b0, v3
	v_mov_b32_e32 v14, v4
	v_add_co_u32 v5, vcc_lo, v0, v5
	v_lshlrev_b64 v[9:10], 2, v[9:10]
	ds_read_b32 v2, v21 offset:5824
	v_add_co_ci_u32_e32 v6, vcc_lo, v1, v6, vcc_lo
	v_add_co_u32 v7, vcc_lo, v0, v7
	v_lshlrev_b64 v[13:14], 2, v[13:14]
	v_add_co_ci_u32_e32 v8, vcc_lo, v1, v8, vcc_lo
	v_add_co_u32 v9, vcc_lo, v0, v9
	v_add_co_ci_u32_e32 v10, vcc_lo, v1, v10, vcc_lo
	v_add_co_u32 v13, vcc_lo, v0, v13
	v_add_co_ci_u32_e32 v14, vcc_lo, v1, v14, vcc_lo
	v_cmp_eq_u32_e32 vcc_lo, 0xb5, v3
	global_store_dword v[5:6], v18, off
	s_waitcnt lgkmcnt(1)
	global_store_dword v[7:8], v11, off
	global_store_dword v[9:10], v12, off
	s_waitcnt lgkmcnt(0)
	global_store_dword v[13:14], v2, off
	s_and_b32 exec_lo, exec_lo, vcc_lo
	s_cbranch_execz .LBB0_32
; %bb.31:
	ds_read_b32 v2, v4 offset:6552
	v_add_co_u32 v0, vcc_lo, 0x1800, v0
	v_add_co_ci_u32_e32 v1, vcc_lo, 0, v1, vcc_lo
	s_waitcnt lgkmcnt(0)
	global_store_dword v[0:1], v2, off offset:408
.LBB0_32:
	s_endpgm
	.section	.rodata,"a",@progbits
	.p2align	6, 0x0
	.amdhsa_kernel fft_rtc_fwd_len1638_factors_13_2_3_7_3_wgs_182_tpt_182_halfLds_half_op_CI_CI_unitstride_sbrr_R2C_dirReg
		.amdhsa_group_segment_fixed_size 0
		.amdhsa_private_segment_fixed_size 0
		.amdhsa_kernarg_size 104
		.amdhsa_user_sgpr_count 6
		.amdhsa_user_sgpr_private_segment_buffer 1
		.amdhsa_user_sgpr_dispatch_ptr 0
		.amdhsa_user_sgpr_queue_ptr 0
		.amdhsa_user_sgpr_kernarg_segment_ptr 1
		.amdhsa_user_sgpr_dispatch_id 0
		.amdhsa_user_sgpr_flat_scratch_init 0
		.amdhsa_user_sgpr_private_segment_size 0
		.amdhsa_wavefront_size32 1
		.amdhsa_uses_dynamic_stack 0
		.amdhsa_system_sgpr_private_segment_wavefront_offset 0
		.amdhsa_system_sgpr_workgroup_id_x 1
		.amdhsa_system_sgpr_workgroup_id_y 0
		.amdhsa_system_sgpr_workgroup_id_z 0
		.amdhsa_system_sgpr_workgroup_info 0
		.amdhsa_system_vgpr_workitem_id 0
		.amdhsa_next_free_vgpr 112
		.amdhsa_next_free_sgpr 27
		.amdhsa_reserve_vcc 1
		.amdhsa_reserve_flat_scratch 0
		.amdhsa_float_round_mode_32 0
		.amdhsa_float_round_mode_16_64 0
		.amdhsa_float_denorm_mode_32 3
		.amdhsa_float_denorm_mode_16_64 3
		.amdhsa_dx10_clamp 1
		.amdhsa_ieee_mode 1
		.amdhsa_fp16_overflow 0
		.amdhsa_workgroup_processor_mode 1
		.amdhsa_memory_ordered 1
		.amdhsa_forward_progress 0
		.amdhsa_shared_vgpr_count 0
		.amdhsa_exception_fp_ieee_invalid_op 0
		.amdhsa_exception_fp_denorm_src 0
		.amdhsa_exception_fp_ieee_div_zero 0
		.amdhsa_exception_fp_ieee_overflow 0
		.amdhsa_exception_fp_ieee_underflow 0
		.amdhsa_exception_fp_ieee_inexact 0
		.amdhsa_exception_int_div_zero 0
	.end_amdhsa_kernel
	.text
.Lfunc_end0:
	.size	fft_rtc_fwd_len1638_factors_13_2_3_7_3_wgs_182_tpt_182_halfLds_half_op_CI_CI_unitstride_sbrr_R2C_dirReg, .Lfunc_end0-fft_rtc_fwd_len1638_factors_13_2_3_7_3_wgs_182_tpt_182_halfLds_half_op_CI_CI_unitstride_sbrr_R2C_dirReg
                                        ; -- End function
	.section	.AMDGPU.csdata,"",@progbits
; Kernel info:
; codeLenInByte = 11132
; NumSgprs: 29
; NumVgprs: 112
; ScratchSize: 0
; MemoryBound: 0
; FloatMode: 240
; IeeeMode: 1
; LDSByteSize: 0 bytes/workgroup (compile time only)
; SGPRBlocks: 3
; VGPRBlocks: 13
; NumSGPRsForWavesPerEU: 29
; NumVGPRsForWavesPerEU: 112
; Occupancy: 9
; WaveLimiterHint : 1
; COMPUTE_PGM_RSRC2:SCRATCH_EN: 0
; COMPUTE_PGM_RSRC2:USER_SGPR: 6
; COMPUTE_PGM_RSRC2:TRAP_HANDLER: 0
; COMPUTE_PGM_RSRC2:TGID_X_EN: 1
; COMPUTE_PGM_RSRC2:TGID_Y_EN: 0
; COMPUTE_PGM_RSRC2:TGID_Z_EN: 0
; COMPUTE_PGM_RSRC2:TIDIG_COMP_CNT: 0
	.text
	.p2alignl 6, 3214868480
	.fill 48, 4, 3214868480
	.type	__hip_cuid_98ff6f1613941e1e,@object ; @__hip_cuid_98ff6f1613941e1e
	.section	.bss,"aw",@nobits
	.globl	__hip_cuid_98ff6f1613941e1e
__hip_cuid_98ff6f1613941e1e:
	.byte	0                               ; 0x0
	.size	__hip_cuid_98ff6f1613941e1e, 1

	.ident	"AMD clang version 19.0.0git (https://github.com/RadeonOpenCompute/llvm-project roc-6.4.0 25133 c7fe45cf4b819c5991fe208aaa96edf142730f1d)"
	.section	".note.GNU-stack","",@progbits
	.addrsig
	.addrsig_sym __hip_cuid_98ff6f1613941e1e
	.amdgpu_metadata
---
amdhsa.kernels:
  - .args:
      - .actual_access:  read_only
        .address_space:  global
        .offset:         0
        .size:           8
        .value_kind:     global_buffer
      - .offset:         8
        .size:           8
        .value_kind:     by_value
      - .actual_access:  read_only
        .address_space:  global
        .offset:         16
        .size:           8
        .value_kind:     global_buffer
      - .actual_access:  read_only
        .address_space:  global
        .offset:         24
        .size:           8
        .value_kind:     global_buffer
      - .actual_access:  read_only
        .address_space:  global
        .offset:         32
        .size:           8
        .value_kind:     global_buffer
      - .offset:         40
        .size:           8
        .value_kind:     by_value
      - .actual_access:  read_only
        .address_space:  global
        .offset:         48
        .size:           8
        .value_kind:     global_buffer
      - .actual_access:  read_only
        .address_space:  global
        .offset:         56
        .size:           8
        .value_kind:     global_buffer
      - .offset:         64
        .size:           4
        .value_kind:     by_value
      - .actual_access:  read_only
        .address_space:  global
        .offset:         72
        .size:           8
        .value_kind:     global_buffer
      - .actual_access:  read_only
        .address_space:  global
        .offset:         80
        .size:           8
        .value_kind:     global_buffer
      - .actual_access:  read_only
        .address_space:  global
        .offset:         88
        .size:           8
        .value_kind:     global_buffer
      - .actual_access:  write_only
        .address_space:  global
        .offset:         96
        .size:           8
        .value_kind:     global_buffer
    .group_segment_fixed_size: 0
    .kernarg_segment_align: 8
    .kernarg_segment_size: 104
    .language:       OpenCL C
    .language_version:
      - 2
      - 0
    .max_flat_workgroup_size: 182
    .name:           fft_rtc_fwd_len1638_factors_13_2_3_7_3_wgs_182_tpt_182_halfLds_half_op_CI_CI_unitstride_sbrr_R2C_dirReg
    .private_segment_fixed_size: 0
    .sgpr_count:     29
    .sgpr_spill_count: 0
    .symbol:         fft_rtc_fwd_len1638_factors_13_2_3_7_3_wgs_182_tpt_182_halfLds_half_op_CI_CI_unitstride_sbrr_R2C_dirReg.kd
    .uniform_work_group_size: 1
    .uses_dynamic_stack: false
    .vgpr_count:     112
    .vgpr_spill_count: 0
    .wavefront_size: 32
    .workgroup_processor_mode: 1
amdhsa.target:   amdgcn-amd-amdhsa--gfx1030
amdhsa.version:
  - 1
  - 2
...

	.end_amdgpu_metadata
